;; amdgpu-corpus repo=ROCm/rocFFT kind=compiled arch=gfx950 opt=O3
	.text
	.amdgcn_target "amdgcn-amd-amdhsa--gfx950"
	.amdhsa_code_object_version 6
	.protected	fft_rtc_fwd_len1183_factors_7_13_13_wgs_182_tpt_91_halfLds_sp_ip_CI_unitstride_sbrr_dirReg ; -- Begin function fft_rtc_fwd_len1183_factors_7_13_13_wgs_182_tpt_91_halfLds_sp_ip_CI_unitstride_sbrr_dirReg
	.globl	fft_rtc_fwd_len1183_factors_7_13_13_wgs_182_tpt_91_halfLds_sp_ip_CI_unitstride_sbrr_dirReg
	.p2align	8
	.type	fft_rtc_fwd_len1183_factors_7_13_13_wgs_182_tpt_91_halfLds_sp_ip_CI_unitstride_sbrr_dirReg,@function
fft_rtc_fwd_len1183_factors_7_13_13_wgs_182_tpt_91_halfLds_sp_ip_CI_unitstride_sbrr_dirReg: ; @fft_rtc_fwd_len1183_factors_7_13_13_wgs_182_tpt_91_halfLds_sp_ip_CI_unitstride_sbrr_dirReg
; %bb.0:
	s_load_dwordx2 s[8:9], s[0:1], 0x50
	s_load_dwordx4 s[4:7], s[0:1], 0x0
	s_load_dwordx2 s[10:11], s[0:1], 0x18
	v_mul_u32_u24_e32 v1, 0x2d1, v0
	v_lshrrev_b32_e32 v38, 16, v1
	v_lshl_add_u32 v6, s2, 1, v38
	v_mov_b32_e32 v4, 0
	s_waitcnt lgkmcnt(0)
	v_cmp_lt_u64_e64 s[2:3], s[6:7], 2
	v_mov_b32_e32 v7, v4
	s_and_b64 vcc, exec, s[2:3]
	v_mov_b64_e32 v[2:3], 0
	s_cbranch_vccnz .LBB0_8
; %bb.1:
	s_load_dwordx2 s[2:3], s[0:1], 0x10
	s_add_u32 s12, s10, 8
	s_addc_u32 s13, s11, 0
	s_mov_b64 s[14:15], 1
	v_mov_b64_e32 v[2:3], 0
	s_waitcnt lgkmcnt(0)
	s_add_u32 s16, s2, 8
	s_addc_u32 s17, s3, 0
.LBB0_2:                                ; =>This Inner Loop Header: Depth=1
	s_load_dwordx2 s[18:19], s[16:17], 0x0
                                        ; implicit-def: $vgpr8_vgpr9
	s_waitcnt lgkmcnt(0)
	v_or_b32_e32 v5, s19, v7
	v_cmp_ne_u64_e32 vcc, 0, v[4:5]
	s_and_saveexec_b64 s[2:3], vcc
	s_xor_b64 s[20:21], exec, s[2:3]
	s_cbranch_execz .LBB0_4
; %bb.3:                                ;   in Loop: Header=BB0_2 Depth=1
	v_cvt_f32_u32_e32 v1, s18
	v_cvt_f32_u32_e32 v5, s19
	s_sub_u32 s2, 0, s18
	s_subb_u32 s3, 0, s19
	v_fmac_f32_e32 v1, 0x4f800000, v5
	v_rcp_f32_e32 v1, v1
	s_nop 0
	v_mul_f32_e32 v1, 0x5f7ffffc, v1
	v_mul_f32_e32 v5, 0x2f800000, v1
	v_trunc_f32_e32 v5, v5
	v_fmac_f32_e32 v1, 0xcf800000, v5
	v_cvt_u32_f32_e32 v5, v5
	v_cvt_u32_f32_e32 v1, v1
	v_mul_lo_u32 v8, s2, v5
	v_mul_hi_u32 v10, s2, v1
	v_mul_lo_u32 v9, s3, v1
	v_add_u32_e32 v10, v10, v8
	v_mul_lo_u32 v12, s2, v1
	v_add_u32_e32 v13, v10, v9
	v_mul_hi_u32 v8, v1, v12
	v_mul_hi_u32 v11, v1, v13
	v_mul_lo_u32 v10, v1, v13
	v_mov_b32_e32 v9, v4
	v_lshl_add_u64 v[8:9], v[8:9], 0, v[10:11]
	v_mul_hi_u32 v11, v5, v12
	v_mul_lo_u32 v12, v5, v12
	v_add_co_u32_e32 v8, vcc, v8, v12
	v_mul_hi_u32 v10, v5, v13
	s_nop 0
	v_addc_co_u32_e32 v8, vcc, v9, v11, vcc
	v_mov_b32_e32 v9, v4
	s_nop 0
	v_addc_co_u32_e32 v11, vcc, 0, v10, vcc
	v_mul_lo_u32 v10, v5, v13
	v_lshl_add_u64 v[8:9], v[8:9], 0, v[10:11]
	v_add_co_u32_e32 v1, vcc, v1, v8
	v_mul_lo_u32 v10, s2, v1
	s_nop 0
	v_addc_co_u32_e32 v5, vcc, v5, v9, vcc
	v_mul_lo_u32 v8, s2, v5
	v_mul_hi_u32 v9, s2, v1
	v_add_u32_e32 v8, v9, v8
	v_mul_lo_u32 v9, s3, v1
	v_add_u32_e32 v12, v8, v9
	v_mul_hi_u32 v14, v5, v10
	v_mul_lo_u32 v15, v5, v10
	v_mul_hi_u32 v9, v1, v12
	v_mul_lo_u32 v8, v1, v12
	v_mul_hi_u32 v10, v1, v10
	v_mov_b32_e32 v11, v4
	v_lshl_add_u64 v[8:9], v[10:11], 0, v[8:9]
	v_add_co_u32_e32 v8, vcc, v8, v15
	v_mul_hi_u32 v13, v5, v12
	s_nop 0
	v_addc_co_u32_e32 v8, vcc, v9, v14, vcc
	v_mul_lo_u32 v10, v5, v12
	s_nop 0
	v_addc_co_u32_e32 v11, vcc, 0, v13, vcc
	v_mov_b32_e32 v9, v4
	v_lshl_add_u64 v[8:9], v[8:9], 0, v[10:11]
	v_add_co_u32_e32 v1, vcc, v1, v8
	v_mul_hi_u32 v10, v6, v1
	s_nop 0
	v_addc_co_u32_e32 v5, vcc, v5, v9, vcc
	v_mad_u64_u32 v[8:9], s[2:3], v6, v5, 0
	v_mov_b32_e32 v11, v4
	v_lshl_add_u64 v[8:9], v[10:11], 0, v[8:9]
	v_mad_u64_u32 v[12:13], s[2:3], v7, v1, 0
	v_add_co_u32_e32 v1, vcc, v8, v12
	v_mad_u64_u32 v[10:11], s[2:3], v7, v5, 0
	s_nop 0
	v_addc_co_u32_e32 v8, vcc, v9, v13, vcc
	v_mov_b32_e32 v9, v4
	s_nop 0
	v_addc_co_u32_e32 v11, vcc, 0, v11, vcc
	v_lshl_add_u64 v[8:9], v[8:9], 0, v[10:11]
	v_mul_lo_u32 v1, s19, v8
	v_mul_lo_u32 v5, s18, v9
	v_mad_u64_u32 v[10:11], s[2:3], s18, v8, 0
	v_add3_u32 v1, v11, v5, v1
	v_sub_u32_e32 v5, v7, v1
	v_mov_b32_e32 v11, s19
	v_sub_co_u32_e32 v14, vcc, v6, v10
	v_lshl_add_u64 v[12:13], v[8:9], 0, 1
	s_nop 0
	v_subb_co_u32_e64 v5, s[2:3], v5, v11, vcc
	v_subrev_co_u32_e64 v10, s[2:3], s18, v14
	v_subb_co_u32_e32 v1, vcc, v7, v1, vcc
	s_nop 0
	v_subbrev_co_u32_e64 v5, s[2:3], 0, v5, s[2:3]
	v_cmp_le_u32_e64 s[2:3], s19, v5
	v_cmp_le_u32_e32 vcc, s19, v1
	s_nop 0
	v_cndmask_b32_e64 v11, 0, -1, s[2:3]
	v_cmp_le_u32_e64 s[2:3], s18, v10
	s_nop 1
	v_cndmask_b32_e64 v10, 0, -1, s[2:3]
	v_cmp_eq_u32_e64 s[2:3], s19, v5
	s_nop 1
	v_cndmask_b32_e64 v5, v11, v10, s[2:3]
	v_lshl_add_u64 v[10:11], v[8:9], 0, 2
	v_cmp_ne_u32_e64 s[2:3], 0, v5
	s_nop 1
	v_cndmask_b32_e64 v5, v13, v11, s[2:3]
	v_cndmask_b32_e64 v11, 0, -1, vcc
	v_cmp_le_u32_e32 vcc, s18, v14
	s_nop 1
	v_cndmask_b32_e64 v13, 0, -1, vcc
	v_cmp_eq_u32_e32 vcc, s19, v1
	s_nop 1
	v_cndmask_b32_e32 v1, v11, v13, vcc
	v_cmp_ne_u32_e32 vcc, 0, v1
	v_cndmask_b32_e64 v1, v12, v10, s[2:3]
	s_nop 0
	v_cndmask_b32_e32 v9, v9, v5, vcc
	v_cndmask_b32_e32 v8, v8, v1, vcc
.LBB0_4:                                ;   in Loop: Header=BB0_2 Depth=1
	s_andn2_saveexec_b64 s[2:3], s[20:21]
	s_cbranch_execz .LBB0_6
; %bb.5:                                ;   in Loop: Header=BB0_2 Depth=1
	v_cvt_f32_u32_e32 v1, s18
	s_sub_i32 s20, 0, s18
	v_rcp_iflag_f32_e32 v1, v1
	s_nop 0
	v_mul_f32_e32 v1, 0x4f7ffffe, v1
	v_cvt_u32_f32_e32 v1, v1
	v_mul_lo_u32 v5, s20, v1
	v_mul_hi_u32 v5, v1, v5
	v_add_u32_e32 v1, v1, v5
	v_mul_hi_u32 v1, v6, v1
	v_mul_lo_u32 v5, v1, s18
	v_sub_u32_e32 v5, v6, v5
	v_add_u32_e32 v8, 1, v1
	v_subrev_u32_e32 v9, s18, v5
	v_cmp_le_u32_e32 vcc, s18, v5
	s_nop 1
	v_cndmask_b32_e32 v5, v5, v9, vcc
	v_cndmask_b32_e32 v1, v1, v8, vcc
	v_add_u32_e32 v8, 1, v1
	v_cmp_le_u32_e32 vcc, s18, v5
	v_mov_b32_e32 v9, v4
	s_nop 0
	v_cndmask_b32_e32 v8, v1, v8, vcc
.LBB0_6:                                ;   in Loop: Header=BB0_2 Depth=1
	s_or_b64 exec, exec, s[2:3]
	v_mad_u64_u32 v[10:11], s[2:3], v8, s18, 0
	s_load_dwordx2 s[2:3], s[12:13], 0x0
	v_mul_lo_u32 v1, v9, s18
	v_mul_lo_u32 v5, v8, s19
	v_add3_u32 v1, v11, v5, v1
	v_sub_co_u32_e32 v5, vcc, v6, v10
	s_add_u32 s14, s14, 1
	s_nop 0
	v_subb_co_u32_e32 v1, vcc, v7, v1, vcc
	s_addc_u32 s15, s15, 0
	s_waitcnt lgkmcnt(0)
	v_mul_lo_u32 v1, s2, v1
	v_mul_lo_u32 v6, s3, v5
	v_mad_u64_u32 v[2:3], s[2:3], s2, v5, v[2:3]
	s_add_u32 s12, s12, 8
	v_add3_u32 v3, v6, v3, v1
	s_addc_u32 s13, s13, 0
	v_mov_b64_e32 v[6:7], s[6:7]
	s_add_u32 s16, s16, 8
	v_cmp_ge_u64_e32 vcc, s[14:15], v[6:7]
	s_addc_u32 s17, s17, 0
	s_cbranch_vccnz .LBB0_9
; %bb.7:                                ;   in Loop: Header=BB0_2 Depth=1
	v_mov_b64_e32 v[6:7], v[8:9]
	s_branch .LBB0_2
.LBB0_8:
	v_mov_b64_e32 v[8:9], v[6:7]
.LBB0_9:
	s_lshl_b64 s[2:3], s[6:7], 3
	s_add_u32 s2, s10, s2
	s_addc_u32 s3, s11, s3
	s_load_dwordx2 s[6:7], s[2:3], 0x0
	s_load_dwordx2 s[10:11], s[0:1], 0x20
	s_mov_b32 s2, 0x2d02d03
                                        ; implicit-def: $vgpr24
                                        ; implicit-def: $vgpr26
                                        ; implicit-def: $vgpr20
                                        ; implicit-def: $vgpr16
                                        ; implicit-def: $vgpr10
                                        ; implicit-def: $vgpr14
                                        ; implicit-def: $vgpr34
                                        ; implicit-def: $vgpr18
                                        ; implicit-def: $vgpr22
                                        ; implicit-def: $vgpr30
	s_waitcnt lgkmcnt(0)
	v_mul_lo_u32 v1, s6, v9
	v_mul_lo_u32 v4, s7, v8
	v_mad_u64_u32 v[6:7], s[0:1], s6, v8, v[2:3]
	v_add3_u32 v7, v4, v7, v1
	v_mul_hi_u32 v1, v0, s2
	v_cmp_gt_u64_e64 s[0:1], s[10:11], v[8:9]
	v_mul_u32_u24_e32 v1, 0x5b, v1
	v_mov_b32_e32 v8, 0
	v_sub_u32_e32 v4, v0, v1
	v_mov_b32_e32 v2, 0
	v_lshl_add_u64 v[0:1], v[6:7], 3, s[8:9]
	v_mov_b32_e32 v9, v8
	v_mov_b32_e32 v12, v8
	v_mov_b32_e32 v13, v8
	v_mov_b32_e32 v6, v8
	v_mov_b32_e32 v7, v8
	v_mov_b32_e32 v32, v8
	v_mov_b32_e32 v33, v8
	s_and_saveexec_b64 s[2:3], s[0:1]
	s_cbranch_execz .LBB0_13
; %bb.10:
	v_mov_b32_e32 v5, 0
	v_lshl_add_u64 v[2:3], v[4:5], 3, v[0:1]
	v_add_co_u32_e32 v6, vcc, 0x1000, v2
	global_load_dwordx2 v[18:19], v[2:3], off
	global_load_dwordx2 v[30:31], v[2:3], off offset:1352
	global_load_dwordx2 v[22:23], v[2:3], off offset:2704
	;; [unrolled: 1-line block ×3, first 2 shown]
	v_addc_co_u32_e32 v7, vcc, 0, v3, vcc
	global_load_dwordx2 v[20:21], v[6:7], off offset:1312
	global_load_dwordx2 v[28:29], v[6:7], off offset:2664
	global_load_dwordx2 v[36:37], v[6:7], off offset:4016
	s_movk_i32 s6, 0x4e
	v_cmp_gt_u32_e32 vcc, s6, v4
	v_mov_b32_e32 v32, v5
	v_mov_b32_e32 v7, v5
	;; [unrolled: 1-line block ×7, first 2 shown]
                                        ; implicit-def: $vgpr35
                                        ; implicit-def: $vgpr15
                                        ; implicit-def: $vgpr11
	s_and_saveexec_b64 s[6:7], vcc
	s_cbranch_execz .LBB0_12
; %bb.11:
	v_add_co_u32_e32 v12, vcc, 0x1000, v2
	global_load_dwordx2 v[24:25], v[2:3], off offset:2080
	global_load_dwordx2 v[8:9], v[2:3], off offset:3432
	v_addc_co_u32_e32 v13, vcc, 0, v3, vcc
	v_add_co_u32_e32 v14, vcc, 0x2000, v2
	s_nop 1
	v_addc_co_u32_e32 v15, vcc, 0, v3, vcc
	global_load_dwordx2 v[32:33], v[12:13], off offset:2040
	global_load_dwordx2 v[10:11], v[12:13], off offset:3392
	;; [unrolled: 1-line block ×5, first 2 shown]
	s_waitcnt vmcnt(6)
	v_mov_b32_e32 v13, v24
	s_waitcnt vmcnt(5)
	v_mov_b32_e32 v12, v8
	v_mov_b32_e32 v8, v25
	s_waitcnt vmcnt(4)
	v_mov_b32_e32 v5, v33
	s_waitcnt vmcnt(3)
	v_mov_b32_e32 v14, v10
	s_waitcnt vmcnt(2)
	v_mov_b32_e32 v15, v26
	v_mov_b32_e32 v10, v27
.LBB0_12:
	s_or_b64 exec, exec, s[6:7]
	v_mov_b32_e32 v2, v4
	s_waitcnt vmcnt(5)
	v_mov_b32_e32 v24, v31
	s_waitcnt vmcnt(3)
	;; [unrolled: 2-line block ×3, first 2 shown]
	v_mov_b32_e32 v26, v37
	v_mov_b32_e32 v27, v21
	;; [unrolled: 1-line block ×8, first 2 shown]
.LBB0_13:
	s_or_b64 exec, exec, s[2:3]
	v_and_b32_e32 v3, 1, v38
	v_mov_b32_e32 v28, v22
	v_mov_b32_e32 v29, v21
	;; [unrolled: 1-line block ×4, first 2 shown]
	v_pk_add_f32 v[40:41], v[28:29], v[38:39]
	v_mov_b32_e32 v28, v27
	v_mov_b32_e32 v29, v30
	;; [unrolled: 1-line block ×4, first 2 shown]
	v_pk_add_f32 v[38:39], v[28:29], v[38:39] neg_lo:[0,1] neg_hi:[0,1]
	v_mov_b32_e32 v28, v16
	v_mov_b32_e32 v29, v40
	;; [unrolled: 1-line block ×5, first 2 shown]
	v_cmp_eq_u32_e32 vcc, 1, v3
	v_pk_add_f32 v[36:37], v[24:25], v[26:27] neg_lo:[0,1] neg_hi:[0,1]
	v_pk_add_f32 v[42:43], v[28:29], v[42:43]
	v_mov_b32_e32 v28, v39
	v_cndmask_b32_e32 v3, 0, v5, vcc
	v_pk_add_f32 v[28:29], v[38:39], v[28:29]
	v_mov_b32_e32 v5, v36
	v_pk_add_f32 v[28:29], v[36:37], v[28:29]
	v_pk_add_f32 v[46:47], v[38:39], v[4:5] neg_lo:[0,1] neg_hi:[0,1]
	s_mov_b32 s2, 0x3ee1c552
	v_mov_b32_e32 v29, v47
	s_mov_b32 s3, 0x3f5ff5aa
	v_sub_f32_e32 v54, v40, v41
	v_pk_mul_f32 v[46:47], v[28:29], s[2:3]
	v_pk_add_f32 v[48:49], v[42:43], v[40:41] neg_lo:[0,1] neg_hi:[0,1]
	v_pk_add_f32 v[28:29], v[42:43], v[42:43] op_sel_hi:[0,1]
	s_mov_b32 s8, 0x3d64c772
	v_mul_f32_e32 v44, 0x3f3bfb3b, v54
	v_mov_b32_e32 v49, v29
	v_add_f32_e32 v45, v29, v18
	s_mov_b32 s9, 0x3f955555
	v_pk_fma_f32 v[50:51], v[48:49], s[8:9], v[44:45] neg_lo:[1,0,0] neg_hi:[1,0,0]
	v_pk_add_f32 v[28:29], v[32:33], v[34:35]
	v_mov_b32_e32 v18, v51
	v_pk_add_f32 v[32:33], v[32:33], v[34:35] neg_lo:[0,1] neg_hi:[0,1]
	v_mov_b32_e32 v34, v41
	v_mov_b32_e32 v35, v36
	;; [unrolled: 1-line block ×3, first 2 shown]
	s_mov_b32 s12, 0x3f4a47b2
	v_pk_add_f32 v[52:53], v[50:51], v[18:19]
	v_mad_u32_u24 v18, v4, 28, 0
	v_pk_add_f32 v[34:35], v[34:35], v[42:43] neg_lo:[0,1] neg_hi:[0,1]
	s_mov_b32 s13, 0x3eae86e6
	v_sub_f32_e32 v55, v38, v39
	v_lshl_add_u32 v39, v3, 2, v18
	v_pk_mul_f32 v[36:37], v[34:35], s[12:13]
	ds_write_b32 v39, v45
	s_mov_b32 s7, 0xbf3bfb3b
	v_pk_fma_f32 v[44:45], v[48:49], s[8:9], v[36:37]
	v_fmac_f32_e32 v37, 0xbf08b237, v55
	v_pk_fma_f32 v[34:35], v[34:35], s[12:13], v[46:47] neg_lo:[1,0,1] neg_hi:[1,0,1]
	v_fmamk_f32 v5, v55, 0x3f08b237, v47
	v_fma_f32 v43, v54, s7, -v36
	v_mov_b32_e32 v45, v35
	v_mov_b32_e32 v47, v51
	;; [unrolled: 1-line block ×5, first 2 shown]
	v_pk_add_f32 v[34:35], v[46:47], v[42:43]
	v_pk_add_f32 v[36:37], v[44:45], v[36:37]
	v_add_f32_e32 v40, v46, v5
	v_pk_add_f32 v[42:43], v[36:37], v[34:35]
	ds_write2_b32 v39, v42, v43 offset0:1 offset1:2
	v_pk_add_f32 v[42:43], v[52:53], v[40:41] neg_lo:[0,1] neg_hi:[0,1]
	v_pk_add_f32 v[40:41], v[52:53], v[40:41]
	ds_write2_b32 v39, v42, v40 offset0:3 offset1:4
	v_mov_b32_e32 v5, v40
	v_mov_b32_e32 v40, v35
	v_mov_b32_e32 v41, v36
	v_mov_b32_e32 v36, v37
	v_mov_b32_e32 v37, v34
	s_movk_i32 s11, 0x4e
	s_mov_b32 s6, 0x3f3bfb3b
	s_mov_b32 s10, 0xbf08b237
	v_pk_add_f32 v[34:35], v[40:41], v[36:37] neg_lo:[0,1] neg_hi:[0,1]
	v_cmp_gt_u32_e32 vcc, s11, v4
	ds_write2_b32 v39, v34, v35 offset0:5 offset1:6
	s_and_saveexec_b64 s[14:15], vcc
	s_cbranch_execz .LBB0_15
; %bb.14:
	v_pk_add_f32 v[34:35], v[12:13], v[14:15]
	v_pk_add_f32 v[40:41], v[8:9], v[10:11] neg_lo:[0,1] neg_hi:[0,1]
	v_sub_f32_e32 v5, v35, v28
	v_mul_f32_e32 v36, 0x3f4a47b2, v5
	v_mov_b32_e32 v42, v40
	v_mov_b32_e32 v43, v33
	;; [unrolled: 1-line block ×4, first 2 shown]
	v_pk_add_f32 v[46:47], v[40:41], v[32:33]
	v_mov_b32_e32 v5, v40
	v_pk_add_f32 v[42:43], v[42:43], v[44:45] neg_lo:[0,1] neg_hi:[0,1]
	s_mov_b32 s16, s13
	s_mov_b32 s17, s10
	v_pk_add_f32 v[46:47], v[4:5], v[46:47]
	v_pk_mul_f32 v[44:45], v[42:43], s[16:17]
	v_mov_b32_e32 v46, v41
	v_mov_b32_e32 v38, v45
	v_pk_add_f32 v[40:41], v[46:47], v[40:41] neg_lo:[0,1] neg_hi:[0,1]
	v_pk_fma_f32 v[42:43], v[42:43], s[16:17], v[38:39]
	v_mov_b32_e32 v41, v47
	s_mov_b32 s16, s3
	s_mov_b32 s17, s2
	v_pk_mul_f32 v[46:47], v[40:41], s[16:17]
	v_mov_b32_e32 v5, v34
	v_sub_f32_e64 v43, -v46, v44
	v_pk_add_f32 v[44:45], v[34:35], v[4:5]
	v_pk_fma_f32 v[40:41], v[40:41], s[16:17], v[38:39] neg_lo:[0,0,1] neg_hi:[0,0,1]
	v_mov_b32_e32 v38, v47
	v_pk_add_f32 v[44:45], v[28:29], v[44:45] op_sel_hi:[0,1]
	v_pk_add_f32 v[40:41], v[40:41], v[38:39]
	v_pk_add_f32 v[48:49], v[28:29], v[34:35] neg_lo:[0,1] neg_hi:[0,1]
	v_mov_b32_e32 v38, v45
	v_mov_b32_e32 v49, v45
	v_pk_add_f32 v[44:45], v[6:7], v[38:39]
	v_pk_mul_f32 v[50:51], v[48:49], s[8:9]
	v_mov_b32_e32 v37, v44
	v_pk_fma_f32 v[52:53], v[48:49], s[8:9], v[36:37]
	v_pk_fma_f32 v[48:49], v[48:49], s[8:9], v[36:37] neg_lo:[1,0,0] neg_hi:[1,0,0]
	v_sub_f32_e32 v5, v34, v35
	v_mov_b32_e32 v53, v49
	v_fma_f32 v35, v5, s7, -v36
	v_mov_b32_e32 v34, v49
	v_pk_add_f32 v[34:35], v[52:53], v[34:35]
	v_pk_add_f32 v[36:37], v[42:43], v[46:47] op_sel:[0,1]
	v_fma_f32 v5, v5, s6, -v50
	v_add_f32_e32 v38, v5, v49
	v_pk_add_f32 v[42:43], v[36:37], v[34:35]
	v_add_u32_e32 v54, 0x9f8, v39
	ds_write_b32 v39, v44 offset:2548
	ds_write2_b32 v54, v42, v43 offset1:1
	v_add_u32_e32 v44, 0xa00, v39
	v_pk_add_f32 v[42:43], v[38:39], v[40:41] neg_lo:[0,1] neg_hi:[0,1]
	v_pk_add_f32 v[40:41], v[38:39], v[40:41]
	v_add_u32_e32 v38, 0xa08, v39
	v_pk_add_f32 v[34:35], v[34:35], v[36:37] neg_lo:[0,1] neg_hi:[0,1]
	ds_write2_b32 v44, v42, v40 offset1:1
	v_mov_b32_e32 v5, v34
	ds_write2_b32 v38, v35, v34 offset1:1
.LBB0_15:
	s_or_b64 exec, exec, s[14:15]
	v_mov_b32_e32 v34, v31
	v_pk_add_f32 v[30:31], v[34:35], v[30:31]
	v_pk_add_f32 v[24:25], v[24:25], v[26:27]
	v_pk_add_f32 v[16:17], v[20:21], v[16:17] neg_lo:[0,1] neg_hi:[0,1]
	v_pk_add_f32 v[20:21], v[30:31], v[24:25]
	v_mov_b32_e32 v34, v23
	v_mov_b32_e32 v36, v25
	;; [unrolled: 1-line block ×3, first 2 shown]
	v_pk_add_f32 v[22:23], v[22:23], v[34:35] neg_lo:[0,1] neg_hi:[0,1]
	v_pk_add_f32 v[20:21], v[24:25], v[36:37] neg_lo:[0,1] neg_hi:[0,1]
	v_pk_add_f32 v[36:37], v[24:25], v[4:5]
	v_mov_b32_e32 v31, v25
	v_mov_b32_e32 v25, v30
	v_pk_add_f32 v[26:27], v[16:17], v[22:23]
	v_mov_b32_e32 v23, v16
	v_pk_add_f32 v[24:25], v[30:31], v[24:25] neg_lo:[0,1] neg_hi:[0,1]
	s_mov_b32 s7, s8
	v_mov_b32_e32 v5, v22
	v_pk_add_f32 v[34:35], v[16:17], v[22:23] neg_lo:[0,1] neg_hi:[0,1]
	v_pk_mul_f32 v[30:31], v[24:25], s[6:7]
	v_pk_add_f32 v[22:23], v[26:27], v[16:17] op_sel:[0,1]
	v_pk_add_f32 v[16:17], v[4:5], v[16:17] neg_lo:[0,1] neg_hi:[0,1]
	v_mov_b32_e32 v21, v37
	v_add_f32_e32 v41, v37, v19
	s_mov_b32 s14, s12
	s_mov_b32 s15, s9
	v_mov_b32_e32 v23, v17
	v_mov_b32_e32 v40, v31
	v_pk_mul_f32 v[36:37], v[20:21], s[14:15]
	v_pk_mul_f32 v[16:17], v[22:23], s[2:3]
	v_pk_fma_f32 v[26:27], v[20:21], s[14:15], v[40:41]
	v_pk_fma_f32 v[20:21], v[20:21], s[14:15], v[40:41] neg_lo:[1,0,0] neg_hi:[1,0,0]
	s_mov_b32 s11, s13
	v_mov_b32_e32 v20, v17
	v_pk_mul_f32 v[42:43], v[34:35], s[10:11]
	v_sub_f32_e64 v31, -v36, v30
	v_pk_fma_f32 v[36:37], v[34:35], s[10:11], v[20:21] neg_lo:[1,0,0] neg_hi:[1,0,0]
	v_mov_b32_e32 v20, v43
	v_pk_fma_f32 v[22:23], v[22:23], s[2:3], v[36:37]
	v_lshlrev_b32_e32 v37, 2, v3
	v_lshlrev_b32_e32 v3, 2, v4
	v_pk_fma_f32 v[42:43], v[34:35], s[10:11], v[20:21]
	v_pk_fma_f32 v[34:35], v[34:35], s[10:11], v[16:17] neg_lo:[1,0,1] neg_hi:[1,0,1]
	v_add3_u32 v5, 0, v37, v3
	v_mul_i32_i24_e32 v3, 0xffffffe8, v4
	v_mov_b32_e32 v27, v21
	v_pk_fma_f32 v[24:25], v[24:25], s[6:7], v[40:41] neg_lo:[0,0,1] neg_hi:[0,0,1]
	v_mov_b32_e32 v43, v35
	v_mov_b32_e32 v30, v21
	v_add3_u32 v3, v18, v3, v37
	v_pk_add_f32 v[20:21], v[24:25], v[30:31]
	v_pk_add_f32 v[24:25], v[26:27], v[30:31]
	v_pk_add_f32 v[16:17], v[16:17], v[42:43] op_sel_hi:[0,1]
	v_add_u32_e32 v35, 0x400, v3
	v_add_u32_e32 v36, 0x600, v3
	;; [unrolled: 1-line block ×5, first 2 shown]
	v_pk_add_f32 v[42:43], v[24:25], v[16:17] neg_lo:[0,1] neg_hi:[0,1]
	v_pk_add_f32 v[44:45], v[20:21], v[22:23]
	v_pk_add_f32 v[46:47], v[20:21], v[22:23] neg_lo:[0,1] neg_hi:[0,1]
	v_pk_add_f32 v[48:49], v[16:17], v[24:25]
	s_waitcnt lgkmcnt(0)
	s_barrier
	ds_read_b32 v38, v5
	ds_read2_b32 v[26:27], v3 offset0:91 offset1:182
	ds_read2_b32 v[24:25], v35 offset0:17 offset1:108
	;; [unrolled: 1-line block ×6, first 2 shown]
	s_waitcnt lgkmcnt(0)
	s_barrier
	ds_write_b32 v39, v41
	ds_write2_b32 v39, v42, v43 offset0:1 offset1:2
	ds_write2_b32 v39, v44, v46 offset0:3 offset1:4
	;; [unrolled: 1-line block ×3, first 2 shown]
	s_and_saveexec_b64 s[2:3], vcc
	s_cbranch_execz .LBB0_17
; %bb.16:
	v_pk_add_f32 v[8:9], v[8:9], v[10:11]
	v_pk_add_f32 v[12:13], v[12:13], v[14:15] neg_lo:[0,1] neg_hi:[0,1]
	v_mov_b32_e32 v11, v8
	v_pk_add_f32 v[10:11], v[10:11], v[8:9]
	v_sub_f32_e32 v39, v9, v8
	v_sub_f32_e32 v8, v8, v29
	v_pk_add_f32 v[14:15], v[12:13], v[32:33]
	v_mov_b32_e32 v40, v9
	v_mul_f32_e32 v8, 0x3f4a47b2, v8
	v_mov_b32_e32 v9, v14
	v_pk_add_f32 v[14:15], v[12:13], v[12:13] op_sel:[0,1] op_sel_hi:[1,0] neg_lo:[0,1] neg_hi:[0,1]
	v_pk_add_f32 v[42:43], v[12:13], v[8:9]
	v_mov_b32_e32 v33, v12
	v_mov_b32_e32 v15, v43
	;; [unrolled: 1-line block ×4, first 2 shown]
	s_mov_b32 s6, 0x3eae86e6
	v_pk_add_f32 v[12:13], v[42:43], v[32:33] neg_lo:[0,1] neg_hi:[0,1]
	s_mov_b32 s7, 0xbf08b237
	v_pk_mul_f32 v[32:33], v[12:13], s[6:7]
	s_mov_b32 s8, 0x3f5ff5aa
	s_mov_b32 s9, 0x3ee1c552
	v_mov_b32_e32 v44, v33
	v_pk_mul_f32 v[42:43], v[14:15], s[8:9]
	s_mov_b32 s10, 0xbf3bfb3b
	v_pk_fma_f32 v[12:13], v[12:13], s[6:7], v[44:45]
	v_fma_f32 v41, v39, s10, -v8
	v_pk_fma_f32 v[14:15], v[14:15], s[8:9], v[44:45] neg_lo:[0,0,1] neg_hi:[0,0,1]
	v_sub_f32_e64 v13, -v42, v32
	v_mov_b32_e32 v32, v43
	v_pk_add_f32 v[14:15], v[14:15], v[32:33]
	v_pk_add_f32 v[32:33], v[28:29], v[40:41] op_sel:[1,0] neg_lo:[0,1] neg_hi:[0,1]
	v_pk_add_f32 v[10:11], v[28:29], v[10:11]
	s_mov_b32 s6, 0x3d64c772
	v_mov_b32_e32 v33, v11
	v_pk_add_f32 v[6:7], v[6:7], v[32:33]
	s_mov_b32 s7, 0x3f955555
	v_mov_b32_e32 v9, v7
	v_pk_mul_f32 v[10:11], v[32:33], s[6:7]
	v_pk_fma_f32 v[28:29], v[32:33], s[6:7], v[8:9]
	v_pk_fma_f32 v[8:9], v[32:33], s[6:7], v[8:9] neg_lo:[1,0,0] neg_hi:[1,0,0]
	s_mov_b32 s6, 0x3f3bfb3b
	v_fma_f32 v6, v39, s6, -v10
	v_mov_b32_e32 v29, v9
	v_add_f32_e32 v6, v6, v9
	v_mov_b32_e32 v40, v9
	v_pk_add_f32 v[8:9], v[28:29], v[40:41]
	v_pk_add_f32 v[28:29], v[6:7], v[14:15]
	v_pk_add_f32 v[14:15], v[6:7], v[14:15] neg_lo:[0,1] neg_hi:[0,1]
	v_add_u32_e32 v6, 0x5b, v4
	v_pk_add_f32 v[10:11], v[12:13], v[42:43] op_sel:[0,1]
	v_mul_u32_u24_e32 v6, 28, v6
	v_pk_add_f32 v[12:13], v[8:9], v[10:11] neg_lo:[0,1] neg_hi:[0,1]
	v_pk_add_f32 v[8:9], v[8:9], v[10:11]
	v_add3_u32 v10, 0, v6, v37
	ds_write_b32 v10, v7
	ds_write2_b32 v10, v12, v13 offset0:1 offset1:2
	ds_write2_b32 v10, v28, v14 offset0:3 offset1:4
	;; [unrolled: 1-line block ×3, first 2 shown]
.LBB0_17:
	s_or_b64 exec, exec, s[2:3]
	v_mov_b32_e32 v6, 37
	v_mul_lo_u16_sdwa v6, v4, v6 dst_sel:DWORD dst_unused:UNUSED_PAD src0_sel:BYTE_0 src1_sel:DWORD
	v_sub_u16_sdwa v7, v4, v6 dst_sel:DWORD dst_unused:UNUSED_PAD src0_sel:DWORD src1_sel:BYTE_1
	v_lshrrev_b16_e32 v7, 1, v7
	v_and_b32_e32 v7, 0x7f, v7
	v_add_u16_sdwa v6, v7, v6 dst_sel:DWORD dst_unused:UNUSED_PAD src0_sel:DWORD src1_sel:BYTE_1
	v_lshrrev_b16_e32 v6, 2, v6
	v_mul_lo_u16_e32 v7, 7, v6
	v_sub_u16_e32 v7, v4, v7
	v_mov_b32_e32 v8, 12
	v_mul_u32_u24_sdwa v8, v7, v8 dst_sel:DWORD dst_unused:UNUSED_PAD src0_sel:BYTE_0 src1_sel:DWORD
	v_lshlrev_b32_e32 v28, 3, v8
	s_waitcnt lgkmcnt(0)
	s_barrier
	global_load_dwordx4 v[8:11], v28, s[4:5]
	global_load_dwordx4 v[12:15], v28, s[4:5] offset:16
	global_load_dwordx4 v[40:43], v28, s[4:5] offset:32
	;; [unrolled: 1-line block ×5, first 2 shown]
	ds_read2_b32 v[28:29], v3 offset0:91 offset1:182
	ds_read_b32 v39, v5
	ds_read2_b32 v[32:33], v35 offset0:17 offset1:108
	ds_read2_b32 v[56:57], v36 offset0:71 offset1:162
	;; [unrolled: 1-line block ×5, first 2 shown]
	s_mov_b32 s6, 0x3f62ad3f
	s_mov_b32 s10, 0x3f116cb1
	;; [unrolled: 1-line block ×11, first 2 shown]
	s_movk_i32 s3, 0x16c
	v_mad_u32_u24 v6, v6, s3, 0
	s_waitcnt lgkmcnt(0)
	s_barrier
	s_mov_b32 s7, 0xbeedf032
	s_mov_b32 s21, 0x3f29c268
	;; [unrolled: 1-line block ×7, first 2 shown]
	s_waitcnt vmcnt(5)
	v_mul_f32_e32 v64, v28, v9
	v_mul_f32_e32 v9, v26, v9
	;; [unrolled: 1-line block ×4, first 2 shown]
	s_waitcnt vmcnt(4)
	v_mul_f32_e32 v66, v32, v13
	v_mul_f32_e32 v13, v24, v13
	;; [unrolled: 1-line block ×4, first 2 shown]
	s_waitcnt vmcnt(3)
	v_mul_f32_e32 v68, v56, v41
	v_mul_f32_e32 v69, v57, v43
	v_fma_f32 v26, v26, v8, -v64
	v_fmac_f32_e32 v9, v28, v8
	v_mul_f32_e32 v41, v22, v41
	v_mul_f32_e32 v43, v23, v43
	v_fma_f32 v27, v27, v10, -v65
	v_fmac_f32_e32 v11, v29, v10
	v_fma_f32 v8, v24, v12, -v66
	v_fma_f32 v10, v25, v14, -v67
	v_fmac_f32_e32 v13, v32, v12
	v_fmac_f32_e32 v15, v33, v14
	v_fma_f32 v12, v22, v40, -v68
	v_fma_f32 v14, v23, v42, -v69
	v_add_f32_e32 v22, v38, v26
	v_add_f32_e32 v23, v39, v9
	;; [unrolled: 1-line block ×6, first 2 shown]
	v_fmac_f32_e32 v41, v56, v40
	v_add_f32_e32 v22, v22, v10
	v_add_f32_e32 v23, v23, v15
	s_waitcnt vmcnt(2)
	v_mul_f32_e32 v70, v58, v45
	v_mul_f32_e32 v45, v20, v45
	v_fmac_f32_e32 v43, v57, v42
	v_add_f32_e32 v22, v22, v12
	v_add_f32_e32 v23, v23, v41
	v_mul_f32_e32 v71, v59, v47
	v_mul_f32_e32 v47, v21, v47
	v_fma_f32 v20, v20, v44, -v70
	v_fmac_f32_e32 v45, v58, v44
	v_add_f32_e32 v22, v22, v14
	v_add_f32_e32 v23, v23, v43
	s_waitcnt vmcnt(1)
	v_mul_f32_e32 v72, v60, v49
	v_mul_f32_e32 v49, v18, v49
	v_fma_f32 v21, v21, v46, -v71
	v_fmac_f32_e32 v47, v59, v46
	v_add_f32_e32 v22, v22, v20
	v_add_f32_e32 v23, v23, v45
	v_mul_f32_e32 v73, v61, v51
	v_mul_f32_e32 v51, v19, v51
	s_waitcnt vmcnt(0)
	v_mul_f32_e32 v75, v63, v55
	v_mul_f32_e32 v55, v17, v55
	v_fma_f32 v18, v18, v48, -v72
	v_fmac_f32_e32 v49, v60, v48
	v_add_f32_e32 v22, v22, v21
	v_add_f32_e32 v23, v23, v47
	v_mul_f32_e32 v74, v62, v53
	v_mul_f32_e32 v53, v16, v53
	v_fma_f32 v19, v19, v50, -v73
	v_fmac_f32_e32 v51, v61, v50
	v_fmac_f32_e32 v55, v63, v54
	v_add_f32_e32 v22, v22, v18
	v_add_f32_e32 v23, v23, v49
	v_fma_f32 v16, v16, v52, -v74
	v_fmac_f32_e32 v53, v62, v52
	v_fma_f32 v17, v17, v54, -v75
	v_add_f32_e32 v25, v9, v55
	v_sub_f32_e32 v9, v9, v55
	v_add_f32_e32 v22, v22, v19
	v_add_f32_e32 v23, v23, v51
	;; [unrolled: 1-line block ×3, first 2 shown]
	v_sub_f32_e32 v26, v26, v17
	v_mul_f32_e32 v28, 0xbeedf032, v9
	v_add_f32_e32 v22, v22, v16
	v_add_f32_e32 v23, v23, v53
	v_mul_f32_e32 v33, 0xbf52af12, v9
	v_mul_f32_e32 v46, 0xbf7e222b, v9
	;; [unrolled: 1-line block ×5, first 2 shown]
	v_add_f32_e32 v17, v22, v17
	v_add_f32_e32 v22, v23, v55
	v_fma_f32 v23, v24, s6, -v28
	v_mul_f32_e32 v29, 0xbeedf032, v26
	v_fmac_f32_e32 v28, 0x3f62ad3f, v24
	v_fma_f32 v40, v24, s10, -v33
	v_mul_f32_e32 v42, 0xbf52af12, v26
	v_fmac_f32_e32 v33, 0x3f116cb1, v24
	;; [unrolled: 3-line block ×5, first 2 shown]
	v_fma_f32 v61, v24, s14, -v9
	v_fmac_f32_e32 v9, 0xbf788fa5, v24
	v_mul_f32_e32 v26, 0xbe750f2a, v26
	v_add_f32_e32 v23, v38, v23
	v_fmamk_f32 v32, v25, 0x3f62ad3f, v29
	v_add_f32_e32 v28, v38, v28
	v_fma_f32 v29, v25, s6, -v29
	v_add_f32_e32 v40, v38, v40
	v_fmamk_f32 v44, v25, 0x3f116cb1, v42
	v_add_f32_e32 v33, v38, v33
	v_fma_f32 v42, v25, s10, -v42
	;; [unrolled: 4-line block ×5, first 2 shown]
	v_add_f32_e32 v61, v38, v61
	v_add_f32_e32 v9, v38, v9
	v_fmamk_f32 v38, v25, 0xbf788fa5, v26
	v_fma_f32 v25, v25, s14, -v26
	v_add_f32_e32 v32, v39, v32
	v_add_f32_e32 v29, v39, v29
	;; [unrolled: 1-line block ×13, first 2 shown]
	v_sub_f32_e32 v11, v11, v53
	v_add_f32_e32 v26, v27, v16
	v_sub_f32_e32 v16, v27, v16
	v_mul_f32_e32 v27, 0xbf52af12, v11
	v_fma_f32 v53, v26, s10, -v27
	v_add_f32_e32 v23, v53, v23
	v_mul_f32_e32 v53, 0xbf52af12, v16
	v_fmac_f32_e32 v27, 0x3f116cb1, v26
	v_add_f32_e32 v27, v27, v28
	v_fma_f32 v28, v39, s10, -v53
	v_add_f32_e32 v28, v28, v29
	v_mul_f32_e32 v29, 0xbf6f5d39, v11
	v_fmamk_f32 v62, v39, 0x3f116cb1, v53
	v_fma_f32 v53, v26, s8, -v29
	v_add_f32_e32 v40, v53, v40
	v_mul_f32_e32 v53, 0xbf6f5d39, v16
	v_fmac_f32_e32 v29, 0xbeb58ec6, v26
	v_add_f32_e32 v29, v29, v33
	v_fma_f32 v33, v39, s8, -v53
	v_add_f32_e32 v33, v33, v42
	v_mul_f32_e32 v42, 0xbe750f2a, v11
	v_add_f32_e32 v32, v62, v32
	v_fmamk_f32 v62, v39, 0xbeb58ec6, v53
	v_fma_f32 v53, v26, s14, -v42
	v_add_f32_e32 v48, v53, v48
	v_mul_f32_e32 v53, 0xbe750f2a, v16
	v_fmac_f32_e32 v42, 0xbf788fa5, v26
	v_add_f32_e32 v42, v42, v46
	v_fma_f32 v46, v39, s14, -v53
	v_add_f32_e32 v46, v46, v50
	v_mul_f32_e32 v50, 0x3f29c268, v11
	v_add_f32_e32 v44, v62, v44
	v_fmamk_f32 v62, v39, 0xbf788fa5, v53
	v_fma_f32 v53, v26, s12, -v50
	v_add_f32_e32 v53, v53, v55
	v_mul_f32_e32 v55, 0x3f29c268, v16
	v_fmac_f32_e32 v50, 0xbf3f9e67, v26
	v_add_f32_e32 v52, v62, v52
	v_fmamk_f32 v62, v39, 0xbf3f9e67, v55
	v_add_f32_e32 v50, v50, v54
	v_fma_f32 v54, v39, s12, -v55
	v_mul_f32_e32 v55, 0x3f7e222b, v11
	v_add_f32_e32 v54, v54, v56
	v_fma_f32 v56, v26, s16, -v55
	v_add_f32_e32 v56, v56, v59
	v_mul_f32_e32 v59, 0x3f7e222b, v16
	v_fmac_f32_e32 v55, 0x3df6dbef, v26
	v_mul_f32_e32 v11, 0x3eedf032, v11
	v_add_f32_e32 v57, v62, v57
	v_fmamk_f32 v62, v39, 0x3df6dbef, v59
	v_add_f32_e32 v55, v55, v58
	v_fma_f32 v58, v39, s16, -v59
	v_fma_f32 v59, v26, s6, -v11
	v_mul_f32_e32 v16, 0x3eedf032, v16
	v_fmac_f32_e32 v11, 0x3f62ad3f, v26
	v_add_f32_e32 v9, v11, v9
	v_fma_f32 v11, v39, s6, -v16
	v_add_f32_e32 v11, v11, v25
	v_add_f32_e32 v25, v13, v51
	v_sub_f32_e32 v13, v13, v51
	v_add_f32_e32 v58, v58, v60
	v_fmamk_f32 v60, v39, 0x3f62ad3f, v16
	v_add_f32_e32 v16, v8, v19
	v_sub_f32_e32 v8, v8, v19
	v_mul_f32_e32 v19, 0xbf7e222b, v13
	v_fma_f32 v26, v16, s16, -v19
	v_add_f32_e32 v23, v26, v23
	v_mul_f32_e32 v26, 0xbf7e222b, v8
	v_fmac_f32_e32 v19, 0x3df6dbef, v16
	v_fmamk_f32 v39, v25, 0x3df6dbef, v26
	v_add_f32_e32 v19, v19, v27
	v_fma_f32 v26, v25, s16, -v26
	v_mul_f32_e32 v27, 0xbe750f2a, v13
	v_add_f32_e32 v32, v39, v32
	v_add_f32_e32 v26, v26, v28
	v_fma_f32 v28, v16, s14, -v27
	v_mul_f32_e32 v39, 0xbe750f2a, v8
	v_fmac_f32_e32 v27, 0xbf788fa5, v16
	v_add_f32_e32 v27, v27, v29
	v_fma_f32 v29, v25, s14, -v39
	v_add_f32_e32 v28, v28, v40
	v_fmamk_f32 v40, v25, 0xbf788fa5, v39
	v_add_f32_e32 v29, v29, v33
	v_mul_f32_e32 v33, 0x3f6f5d39, v13
	v_add_f32_e32 v40, v40, v44
	v_fma_f32 v39, v16, s8, -v33
	v_mul_f32_e32 v44, 0x3f6f5d39, v8
	v_fmac_f32_e32 v33, 0xbeb58ec6, v16
	v_add_f32_e32 v39, v39, v48
	v_fmamk_f32 v48, v25, 0xbeb58ec6, v44
	v_add_f32_e32 v33, v33, v42
	v_fma_f32 v42, v25, s8, -v44
	v_mul_f32_e32 v44, 0x3eedf032, v13
	v_add_f32_e32 v42, v42, v46
	v_fma_f32 v46, v16, s6, -v44
	v_mul_f32_e32 v51, 0x3eedf032, v8
	v_fmac_f32_e32 v44, 0x3f62ad3f, v16
	v_add_f32_e32 v48, v48, v52
	v_fmamk_f32 v52, v25, 0x3f62ad3f, v51
	v_add_f32_e32 v44, v44, v50
	v_fma_f32 v50, v25, s6, -v51
	v_mul_f32_e32 v51, 0xbf52af12, v13
	v_add_f32_e32 v46, v46, v53
	v_add_f32_e32 v50, v50, v54
	v_fma_f32 v53, v16, s10, -v51
	v_mul_f32_e32 v54, 0xbf52af12, v8
	v_fmac_f32_e32 v51, 0x3f116cb1, v16
	v_mul_f32_e32 v13, 0xbf29c268, v13
	v_add_f32_e32 v24, v62, v24
	v_add_f32_e32 v53, v53, v56
	v_fmamk_f32 v56, v25, 0x3f116cb1, v54
	v_add_f32_e32 v51, v51, v55
	v_fma_f32 v55, v16, s12, -v13
	v_mul_f32_e32 v8, 0xbf29c268, v8
	v_fmac_f32_e32 v13, 0xbf3f9e67, v16
	v_add_f32_e32 v24, v56, v24
	v_fmamk_f32 v56, v25, 0xbf3f9e67, v8
	v_add_f32_e32 v9, v13, v9
	v_fma_f32 v8, v25, s12, -v8
	v_add_f32_e32 v13, v15, v49
	v_sub_f32_e32 v15, v15, v49
	v_add_f32_e32 v8, v8, v11
	v_add_f32_e32 v11, v10, v18
	v_mul_f32_e32 v16, 0xbf6f5d39, v15
	v_sub_f32_e32 v10, v10, v18
	v_fma_f32 v18, v11, s8, -v16
	v_add_f32_e32 v18, v18, v23
	v_mul_f32_e32 v23, 0xbf6f5d39, v10
	v_fmac_f32_e32 v16, 0xbeb58ec6, v11
	v_fma_f32 v54, v25, s10, -v54
	v_fmamk_f32 v25, v13, 0xbeb58ec6, v23
	v_add_f32_e32 v16, v16, v19
	v_fma_f32 v19, v13, s8, -v23
	v_mul_f32_e32 v23, 0x3f29c268, v15
	v_add_f32_e32 v19, v19, v26
	v_fma_f32 v26, v11, s12, -v23
	v_add_f32_e32 v26, v26, v28
	v_mul_f32_e32 v28, 0x3f29c268, v10
	v_fmac_f32_e32 v23, 0xbf3f9e67, v11
	v_add_f32_e32 v25, v25, v32
	v_fmamk_f32 v32, v13, 0xbf3f9e67, v28
	v_add_f32_e32 v23, v23, v27
	v_fma_f32 v27, v13, s12, -v28
	v_mul_f32_e32 v28, 0x3eedf032, v15
	v_add_f32_e32 v27, v27, v29
	v_fma_f32 v29, v11, s6, -v28
	v_add_f32_e32 v29, v29, v39
	v_mul_f32_e32 v39, 0x3eedf032, v10
	v_fmac_f32_e32 v28, 0x3f62ad3f, v11
	v_add_f32_e32 v32, v32, v40
	;; [unrolled: 10-line block ×3, first 2 shown]
	v_fma_f32 v44, v13, s16, -v46
	v_add_f32_e32 v52, v52, v57
	v_add_f32_e32 v40, v40, v48
	v_fmamk_f32 v48, v13, 0x3df6dbef, v46
	v_add_f32_e32 v44, v44, v50
	v_mul_f32_e32 v46, 0x3e750f2a, v15
	v_mul_f32_e32 v50, 0x3e750f2a, v10
	v_add_f32_e32 v48, v48, v52
	v_fma_f32 v49, v11, s14, -v46
	v_fmamk_f32 v52, v13, 0xbf788fa5, v50
	v_fmac_f32_e32 v46, 0xbf788fa5, v11
	v_mul_f32_e32 v15, 0x3f52af12, v15
	v_mul_f32_e32 v10, 0x3f52af12, v10
	v_add_f32_e32 v24, v52, v24
	v_add_f32_e32 v46, v46, v51
	v_fma_f32 v50, v13, s14, -v50
	v_fma_f32 v51, v11, s10, -v15
	v_fmamk_f32 v52, v13, 0x3f116cb1, v10
	v_fmac_f32_e32 v15, 0x3f116cb1, v11
	v_fma_f32 v10, v13, s10, -v10
	v_sub_f32_e32 v13, v41, v47
	v_add_f32_e32 v9, v15, v9
	v_add_f32_e32 v8, v10, v8
	;; [unrolled: 1-line block ×3, first 2 shown]
	v_mul_f32_e32 v15, 0xbf29c268, v13
	v_sub_f32_e32 v12, v12, v21
	v_fma_f32 v21, v10, s12, -v15
	v_add_f32_e32 v11, v41, v47
	v_add_f32_e32 v18, v21, v18
	v_mul_f32_e32 v21, 0xbf29c268, v12
	v_fmac_f32_e32 v15, 0xbf3f9e67, v10
	v_add_f32_e32 v15, v15, v16
	v_fma_f32 v16, v11, s12, -v21
	v_add_f32_e32 v16, v16, v19
	v_mul_f32_e32 v19, 0x3f7e222b, v13
	v_fmamk_f32 v41, v11, 0xbf3f9e67, v21
	v_fma_f32 v21, v10, s16, -v19
	v_add_f32_e32 v21, v21, v26
	v_mul_f32_e32 v26, 0x3f7e222b, v12
	v_fmac_f32_e32 v19, 0x3df6dbef, v10
	v_add_f32_e32 v25, v41, v25
	v_fmamk_f32 v41, v11, 0x3df6dbef, v26
	v_add_f32_e32 v19, v19, v23
	v_fma_f32 v23, v11, s16, -v26
	v_mul_f32_e32 v26, 0xbf52af12, v13
	v_add_f32_e32 v23, v23, v27
	v_fma_f32 v27, v10, s10, -v26
	v_add_f32_e32 v27, v27, v29
	v_mul_f32_e32 v29, 0xbf52af12, v12
	v_fmac_f32_e32 v26, 0x3f116cb1, v10
	v_add_f32_e32 v32, v41, v32
	v_fmamk_f32 v41, v11, 0x3f116cb1, v29
	v_add_f32_e32 v26, v26, v28
	v_fma_f32 v28, v11, s10, -v29
	v_mul_f32_e32 v29, 0x3e750f2a, v13
	v_add_f32_e32 v40, v41, v40
	v_add_f32_e32 v28, v28, v33
	v_fma_f32 v33, v10, s14, -v29
	v_mul_f32_e32 v41, 0x3e750f2a, v12
	v_fmac_f32_e32 v29, 0xbf788fa5, v10
	v_add_f32_e32 v33, v33, v42
	v_fmamk_f32 v42, v11, 0xbf788fa5, v41
	v_add_f32_e32 v29, v29, v39
	v_fma_f32 v39, v11, s14, -v41
	v_mul_f32_e32 v41, 0x3eedf032, v13
	v_add_f32_e32 v39, v39, v44
	v_fma_f32 v44, v10, s6, -v41
	v_mul_f32_e32 v47, 0x3eedf032, v12
	v_fmac_f32_e32 v41, 0x3f62ad3f, v10
	v_mul_f32_e32 v13, 0xbf6f5d39, v13
	v_add_f32_e32 v42, v42, v48
	v_fmamk_f32 v48, v11, 0x3f62ad3f, v47
	v_add_f32_e32 v41, v41, v46
	v_fma_f32 v46, v11, s6, -v47
	v_fma_f32 v47, v10, s8, -v13
	v_mul_f32_e32 v12, 0xbf6f5d39, v12
	v_fmac_f32_e32 v13, 0xbeb58ec6, v10
	v_add_f32_e32 v9, v13, v9
	v_fma_f32 v10, v11, s8, -v12
	v_sub_f32_e32 v13, v43, v45
	v_add_f32_e32 v24, v48, v24
	v_fmamk_f32 v48, v11, 0xbeb58ec6, v12
	v_add_f32_e32 v8, v10, v8
	v_add_f32_e32 v10, v14, v20
	v_sub_f32_e32 v12, v14, v20
	v_mul_f32_e32 v14, 0xbe750f2a, v13
	v_fma_f32 v20, v10, s14, -v14
	v_add_f32_e32 v11, v43, v45
	v_add_f32_e32 v18, v20, v18
	v_mul_f32_e32 v20, 0xbe750f2a, v12
	v_fmac_f32_e32 v14, 0xbf788fa5, v10
	v_add_f32_e32 v14, v14, v15
	v_fma_f32 v15, v11, s14, -v20
	v_fmamk_f32 v43, v11, 0xbf788fa5, v20
	v_add_f32_e32 v20, v15, v16
	v_mul_f32_e32 v15, 0x3eedf032, v13
	v_fma_f32 v16, v10, s6, -v15
	v_add_f32_e32 v16, v16, v21
	v_mul_f32_e32 v21, 0x3eedf032, v12
	v_fmac_f32_e32 v15, 0x3f62ad3f, v10
	v_add_f32_e32 v15, v15, v19
	v_fma_f32 v19, v11, s6, -v21
	v_add_f32_e32 v25, v43, v25
	v_fmamk_f32 v43, v11, 0x3f62ad3f, v21
	v_add_f32_e32 v21, v19, v23
	v_mul_f32_e32 v19, 0xbf29c268, v13
	v_fma_f32 v23, v10, s12, -v19
	v_add_f32_e32 v23, v23, v27
	v_mul_f32_e32 v27, 0xbf29c268, v12
	v_fmac_f32_e32 v19, 0xbf3f9e67, v10
	v_add_f32_e32 v32, v43, v32
	v_fmamk_f32 v43, v11, 0xbf3f9e67, v27
	v_add_f32_e32 v19, v19, v26
	v_fma_f32 v26, v11, s12, -v27
	v_mul_f32_e32 v27, 0x3f52af12, v13
	v_add_f32_e32 v26, v26, v28
	v_fma_f32 v28, v10, s10, -v27
	v_add_f32_e32 v28, v28, v33
	v_mul_f32_e32 v33, 0x3f52af12, v12
	v_fmac_f32_e32 v27, 0x3f116cb1, v10
	v_add_f32_e32 v38, v60, v38
	v_add_f32_e32 v49, v49, v53
	;; [unrolled: 1-line block ×3, first 2 shown]
	v_fmamk_f32 v43, v11, 0x3f116cb1, v33
	v_add_f32_e32 v27, v27, v29
	v_fma_f32 v29, v11, s10, -v33
	v_mul_f32_e32 v33, 0xbf6f5d39, v13
	v_add_f32_e32 v38, v56, v38
	v_add_f32_e32 v44, v44, v49
	;; [unrolled: 1-line block ×4, first 2 shown]
	v_fma_f32 v39, v10, s8, -v33
	v_mul_f32_e32 v43, 0xbf6f5d39, v12
	v_add_f32_e32 v38, v52, v38
	v_add_f32_e32 v39, v39, v44
	v_fmamk_f32 v44, v11, 0xbeb58ec6, v43
	v_fmac_f32_e32 v33, 0xbeb58ec6, v10
	v_mul_f32_e32 v13, 0x3f7e222b, v13
	v_mul_f32_e32 v12, 0x3f7e222b, v12
	v_add_f32_e32 v59, v59, v61
	v_add_f32_e32 v38, v48, v38
	;; [unrolled: 1-line block ×4, first 2 shown]
	v_fma_f32 v41, v11, s8, -v43
	v_fma_f32 v43, v10, s16, -v13
	v_fmamk_f32 v44, v11, 0x3df6dbef, v12
	v_fmac_f32_e32 v13, 0x3df6dbef, v10
	v_fma_f32 v10, v11, s16, -v12
	v_add_f32_e32 v55, v55, v59
	v_add_f32_e32 v38, v44, v38
	;; [unrolled: 1-line block ×3, first 2 shown]
	v_mov_b32_e32 v8, 2
	v_add_f32_e32 v51, v51, v55
	v_lshlrev_b32_sdwa v7, v8, v7 dst_sel:DWORD dst_unused:UNUSED_PAD src0_sel:DWORD src1_sel:BYTE_0
	v_add_f32_e32 v47, v47, v51
	v_add_f32_e32 v9, v13, v9
	v_add3_u32 v7, v6, v7, v37
	v_add_f32_e32 v43, v43, v47
	ds_write2_b32 v7, v17, v18 offset1:7
	ds_write2_b32 v7, v16, v23 offset0:14 offset1:21
	ds_write2_b32 v7, v28, v39 offset0:28 offset1:35
	;; [unrolled: 1-line block ×5, first 2 shown]
	ds_write_b32 v7, v14 offset:336
	s_waitcnt lgkmcnt(0)
	s_barrier
	ds_read_b32 v6, v5
	ds_read2_b32 v[14:15], v3 offset0:91 offset1:182
	ds_read2_b32 v[12:13], v35 offset0:17 offset1:108
	;; [unrolled: 1-line block ×6, first 2 shown]
	v_add_f32_e32 v54, v54, v58
	v_add_f32_e32 v50, v50, v54
	v_add_f32_e32 v46, v46, v50
	v_add_f32_e32 v41, v41, v46
	s_waitcnt lgkmcnt(0)
	s_barrier
	ds_write2_b32 v7, v22, v25 offset1:7
	ds_write2_b32 v7, v32, v40 offset0:14 offset1:21
	ds_write2_b32 v7, v42, v24 offset0:28 offset1:35
	;; [unrolled: 1-line block ×5, first 2 shown]
	ds_write_b32 v7, v20 offset:336
	s_waitcnt lgkmcnt(0)
	s_barrier
	s_and_saveexec_b64 s[28:29], s[0:1]
	s_cbranch_execz .LBB0_19
; %bb.18:
	v_mul_u32_u24_e32 v4, 12, v4
	v_lshlrev_b32_e32 v4, 3, v4
	global_load_dwordx4 v[20:23], v4, s[4:5] offset:672
	global_load_dwordx4 v[24:27], v4, s[4:5] offset:752
	;; [unrolled: 1-line block ×6, first 2 shown]
	v_add_u32_e32 v47, 0xe00, v3
	ds_read2_b32 v[44:45], v3 offset0:91 offset1:182
	ds_read_b32 v7, v5
	v_add_u32_e32 v5, 0xc00, v3
	v_add_u32_e32 v49, 0x400, v3
	;; [unrolled: 1-line block ×4, first 2 shown]
	ds_read2_b32 v[60:61], v47 offset0:105 offset1:196
	ds_read2_b32 v[62:63], v5 offset0:51 offset1:142
	ds_read2_b32 v[64:65], v49 offset0:17 offset1:108
	ds_read2_b32 v[66:67], v51 offset0:125 offset1:216
	ds_read2_b32 v[68:69], v53 offset0:71 offset1:162
	v_mov_b32_e32 v3, 0
	v_lshl_add_u64 v[0:1], v[2:3], 3, v[0:1]
	s_waitcnt lgkmcnt(4)
	v_mov_b32_e32 v2, v61
	v_mov_b32_e32 v46, v17
	;; [unrolled: 1-line block ×4, first 2 shown]
	s_waitcnt lgkmcnt(3)
	v_mov_b32_e32 v70, v63
	s_waitcnt lgkmcnt(2)
	v_mov_b32_e32 v72, v65
	v_mov_b32_e32 v4, v19
	;; [unrolled: 1-line block ×4, first 2 shown]
	s_waitcnt lgkmcnt(1)
	v_mov_b32_e32 v74, v67
	s_waitcnt lgkmcnt(0)
	v_mov_b32_e32 v76, v69
	v_mov_b32_e32 v56, v11
	;; [unrolled: 1-line block ×3, first 2 shown]
	s_mov_b32 s0, s7
	s_mov_b32 s1, s6
	;; [unrolled: 1-line block ×24, first 2 shown]
	s_waitcnt vmcnt(5)
	v_mul_f32_e32 v61, v15, v23
	v_mul_f32_e32 v59, v14, v21
	;; [unrolled: 1-line block ×4, first 2 shown]
	s_waitcnt vmcnt(4)
	v_pk_mul_f32 v[80:81], v[60:61], v[24:25] op_sel:[0,1] op_sel_hi:[0,0]
	s_waitcnt vmcnt(3)
	v_mov_b32_e32 v82, v31
	v_mov_b32_e32 v83, v30
	v_pk_mul_f32 v[62:63], v[62:63], v[28:29] op_sel:[0,1] op_sel_hi:[0,0]
	s_waitcnt vmcnt(2)
	v_mul_f32_e32 v9, v64, v33
	v_mul_f32_e32 v17, v12, v33
	v_mov_b32_e32 v84, v35
	v_mov_b32_e32 v85, v34
	;; [unrolled: 1-line block ×4, first 2 shown]
	v_fma_f32 v60, v15, v22, -v5
	v_fma_f32 v67, v14, v20, -v3
	v_fmac_f32_e32 v59, v44, v20
	v_fmac_f32_e32 v61, v45, v22
	v_pk_fma_f32 v[20:21], v[18:19], v[24:25], v[80:81] op_sel_hi:[0,1,1] neg_lo:[0,0,1] neg_hi:[0,0,1]
	v_pk_fma_f32 v[18:19], v[18:19], v[24:25], v[80:81] op_sel_hi:[0,1,1]
	v_pk_mul_f32 v[14:15], v[70:71], v[82:83] op_sel_hi:[0,1]
	v_pk_fma_f32 v[22:23], v[16:17], v[28:29], v[62:63] neg_lo:[0,0,1] neg_hi:[0,0,1]
	v_pk_fma_f32 v[24:25], v[16:17], v[28:29], v[62:63] op_sel_hi:[0,1,1]
	v_fma_f32 v16, v12, v32, -v9
	v_pk_mul_f32 v[12:13], v[72:73], v[84:85] op_sel_hi:[0,1]
	v_pk_mul_f32 v[2:3], v[2:3], v[78:79] op_sel_hi:[0,1]
	v_fmac_f32_e32 v17, v64, v32
	v_pk_fma_f32 v[64:65], v[46:47], v[30:31], v[14:15] op_sel_hi:[0,1,1] neg_lo:[0,0,1] neg_hi:[0,0,1]
	v_pk_fma_f32 v[30:31], v[46:47], v[30:31], v[14:15] op_sel_hi:[0,1,1]
	v_pk_fma_f32 v[48:49], v[48:49], v[34:35], v[12:13] neg_lo:[0,0,1] neg_hi:[0,0,1]
	v_pk_fma_f32 v[14:15], v[50:51], v[34:35], v[12:13] op_sel_hi:[0,1,1]
	v_add_f32_e32 v35, v7, v59
	v_add_f32_e32 v34, v6, v67
	s_waitcnt vmcnt(1)
	v_pk_mul_f32 v[68:69], v[68:69], v[36:37] op_sel:[0,1] op_sel_hi:[0,0]
	s_waitcnt vmcnt(0)
	v_mov_b32_e32 v86, v43
	v_mov_b32_e32 v87, v42
	;; [unrolled: 1-line block ×4, first 2 shown]
	v_pk_fma_f32 v[62:63], v[4:5], v[26:27], v[2:3] op_sel_hi:[0,1,1] neg_lo:[0,0,1] neg_hi:[0,0,1]
	v_pk_fma_f32 v[26:27], v[4:5], v[26:27], v[2:3] op_sel_hi:[0,1,1]
	v_mov_b32_e32 v21, v19
	v_add_f32_e32 v3, v19, v61
	v_sub_f32_e32 v2, v61, v19
	v_pk_add_f32 v[18:19], v[34:35], v[60:61]
	v_pk_fma_f32 v[28:29], v[10:11], v[36:37], v[68:69] neg_lo:[0,0,1] neg_hi:[0,0,1]
	v_pk_fma_f32 v[32:33], v[10:11], v[36:37], v[68:69] op_sel_hi:[0,1,1]
	v_pk_mul_f32 v[10:11], v[74:75], v[86:87] op_sel_hi:[0,1]
	v_pk_mul_f32 v[36:37], v[76:77], v[88:89] op_sel_hi:[0,1]
	v_add_f32_e32 v13, v31, v17
	v_sub_f32_e32 v45, v16, v64
	v_mov_b32_e32 v49, v15
	v_add_f32_e32 v44, v64, v16
	v_sub_f32_e32 v12, v17, v31
	v_pk_add_f32 v[16:17], v[18:19], v[16:17]
	v_pk_fma_f32 v[50:51], v[56:57], v[38:39], v[36:37] neg_lo:[0,0,1] neg_hi:[0,0,1]
	v_pk_fma_f32 v[36:37], v[58:59], v[38:39], v[36:37] op_sel_hi:[0,1,1]
	v_pk_fma_f32 v[38:39], v[52:53], v[42:43], v[10:11] neg_lo:[0,0,1] neg_hi:[0,0,1]
	v_pk_fma_f32 v[42:43], v[54:55], v[42:43], v[10:11] op_sel_hi:[0,1,1]
	v_pk_mul_f32 v[10:11], v[66:67], v[40:41] op_sel:[0,1] op_sel_hi:[0,0]
	v_mov_b32_e32 v29, v33
	v_pk_add_f32 v[16:17], v[16:17], v[48:49]
	v_pk_fma_f32 v[52:53], v[8:9], v[40:41], v[10:11] neg_lo:[0,0,1] neg_hi:[0,0,1]
	v_pk_fma_f32 v[40:41], v[8:9], v[40:41], v[10:11] op_sel_hi:[0,1,1]
	v_mov_b32_e32 v51, v37
	v_pk_add_f32 v[16:17], v[16:17], v[28:29]
	v_mov_b32_e32 v53, v41
	v_pk_add_f32 v[16:17], v[16:17], v[50:51]
	;; [unrolled: 2-line block ×6, first 2 shown]
	v_sub_f32_e32 v47, v67, v62
	v_pk_add_f32 v[16:17], v[20:21], v[16:17]
	v_add_f32_e32 v46, v62, v67
	v_pk_add_f32 v[16:17], v[62:63], v[16:17]
	v_add_f32_e32 v5, v27, v59
	v_sub_f32_e32 v4, v59, v27
	global_store_dwordx2 v[0:1], v[16:17], off
	v_pk_mul_f32 v[16:17], v[46:47], s[6:7]
	v_sub_f32_e32 v55, v60, v20
	v_add_f32_e32 v54, v20, v60
	v_pk_fma_f32 v[20:21], v[4:5], s[0:1], v[16:17] neg_lo:[1,0,0] neg_hi:[1,0,0]
	v_pk_fma_f32 v[18:19], v[4:5], s[0:1], v[16:17]
	v_pk_add_f32 v[10:11], v[22:23], v[48:49]
	v_mov_b32_e32 v21, v19
	v_pk_add_f32 v[24:25], v[6:7], v[20:21]
	v_pk_mul_f32 v[20:21], v[54:55], s[10:11]
	v_pk_add_f32 v[56:57], v[48:49], v[22:23] neg_lo:[0,1] neg_hi:[0,1]
	v_pk_fma_f32 v[26:27], v[2:3], s[4:5], v[20:21] neg_lo:[1,0,0] neg_hi:[1,0,0]
	v_pk_fma_f32 v[22:23], v[2:3], s[4:5], v[20:21]
	v_pk_add_f32 v[8:9], v[38:39], v[28:29]
	v_mov_b32_e32 v27, v23
	v_pk_add_f32 v[42:43], v[28:29], v[38:39] neg_lo:[0,1] neg_hi:[0,1]
	v_pk_add_f32 v[28:29], v[24:25], v[26:27]
	v_pk_mul_f32 v[24:25], v[44:45], s[16:17]
	v_mov_b32_e32 v72, v10
	v_pk_fma_f32 v[30:31], v[12:13], s[28:29], v[24:25] neg_lo:[1,0,0] neg_hi:[1,0,0]
	v_pk_fma_f32 v[26:27], v[12:13], s[28:29], v[24:25]
	v_mov_b32_e32 v73, v56
	v_mov_b32_e32 v31, v27
	v_pk_add_f32 v[32:33], v[28:29], v[30:31]
	v_pk_mul_f32 v[28:29], v[72:73], s[8:9]
	v_mov_b32_e32 v10, v57
	v_pk_fma_f32 v[34:35], v[10:11], s[30:31], v[28:29] neg_lo:[1,0,0] neg_hi:[1,0,0]
	v_pk_fma_f32 v[30:31], v[10:11], s[30:31], v[28:29]
	v_mov_b32_e32 v80, v8
	v_mov_b32_e32 v35, v31
	;; [unrolled: 1-line block ×3, first 2 shown]
	v_pk_add_f32 v[36:37], v[32:33], v[34:35]
	v_pk_mul_f32 v[32:33], v[80:81], s[12:13]
	v_mov_b32_e32 v8, v43
	v_pk_add_f32 v[14:15], v[52:53], v[50:51]
	v_pk_add_f32 v[40:41], v[50:51], v[52:53] neg_lo:[0,1] neg_hi:[0,1]
	v_pk_fma_f32 v[38:39], v[8:9], s[34:35], v[32:33] neg_lo:[1,0,0] neg_hi:[1,0,0]
	v_pk_fma_f32 v[34:35], v[8:9], s[34:35], v[32:33]
	v_mov_b32_e32 v84, v14
	v_mov_b32_e32 v39, v35
	;; [unrolled: 1-line block ×3, first 2 shown]
	v_pk_add_f32 v[42:43], v[36:37], v[38:39]
	v_pk_mul_f32 v[36:37], v[84:85], s[14:15]
	v_mov_b32_e32 v14, v41
	v_pk_fma_f32 v[40:41], v[14:15], s[36:37], v[36:37] neg_lo:[1,0,0] neg_hi:[1,0,0]
	v_pk_fma_f32 v[38:39], v[14:15], s[36:37], v[36:37]
	s_mov_b32 s7, s2
	v_mov_b32_e32 v41, v39
	v_pk_add_f32 v[40:41], v[42:43], v[40:41]
	v_pk_mul_f32 v[42:43], v[46:47], s[10:11]
	global_store_dwordx2 v[0:1], v[40:41], off offset:728
	v_pk_fma_f32 v[50:51], v[4:5], s[4:5], v[42:43] neg_lo:[1,0,0] neg_hi:[1,0,0]
	v_pk_fma_f32 v[48:49], v[4:5], s[4:5], v[42:43]
	v_pk_mul_f32 v[40:41], v[54:55], s[8:9]
	v_mov_b32_e32 v51, v49
	v_pk_add_f32 v[52:53], v[6:7], v[50:51]
	v_pk_fma_f32 v[56:57], v[2:3], s[30:31], v[40:41] neg_lo:[1,0,0] neg_hi:[1,0,0]
	v_pk_fma_f32 v[50:51], v[2:3], s[30:31], v[40:41]
	v_pk_mul_f32 v[78:79], v[54:55], s[14:15]
	v_mov_b32_e32 v57, v51
	v_pk_add_f32 v[58:59], v[52:53], v[56:57]
	v_pk_mul_f32 v[56:57], v[44:45], s[14:15]
	v_pk_fma_f32 v[86:87], v[2:3], s[36:37], v[78:79] neg_lo:[1,0,0] neg_hi:[1,0,0]
	v_pk_fma_f32 v[60:61], v[12:13], s[36:37], v[56:57] neg_lo:[1,0,0] neg_hi:[1,0,0]
	v_pk_fma_f32 v[52:53], v[12:13], s[36:37], v[56:57]
	v_pk_mul_f32 v[88:89], v[44:45], s[26:27]
	v_mov_b32_e32 v61, v53
	v_pk_add_f32 v[62:63], v[58:59], v[60:61]
	v_pk_mul_f32 v[60:61], v[72:73], s[20:21]
	v_pk_fma_f32 v[90:91], v[12:13], s[42:43], v[88:89] neg_lo:[1,0,0] neg_hi:[1,0,0]
	;; [unrolled: 7-line block ×3, first 2 shown]
	v_pk_fma_f32 v[68:69], v[8:9], s[40:41], v[64:65] neg_lo:[1,0,0] neg_hi:[1,0,0]
	v_pk_fma_f32 v[62:63], v[8:9], s[40:41], v[64:65]
	v_pk_fma_f32 v[110:111], v[2:3], s[38:39], v[106:107]
	v_mov_b32_e32 v69, v63
	v_pk_add_f32 v[70:71], v[66:67], v[68:69]
	v_pk_mul_f32 v[68:69], v[84:85], s[6:7]
	v_mov_b32_e32 v109, v111
	v_pk_fma_f32 v[74:75], v[14:15], s[2:3], v[68:69] neg_lo:[1,0,0] neg_hi:[1,0,0]
	v_pk_fma_f32 v[66:67], v[14:15], s[2:3], v[68:69]
	s_mov_b32 s20, s23
	v_mov_b32_e32 v75, v67
	v_pk_add_f32 v[70:71], v[70:71], v[74:75]
	v_pk_mul_f32 v[74:75], v[46:47], s[16:17]
	global_store_dwordx2 v[0:1], v[70:71], off offset:1456
	v_pk_fma_f32 v[76:77], v[4:5], s[28:29], v[74:75] neg_lo:[1,0,0] neg_hi:[1,0,0]
	v_pk_fma_f32 v[70:71], v[4:5], s[28:29], v[74:75]
	s_mov_b32 s21, s10
	v_mov_b32_e32 v77, v71
	v_pk_add_f32 v[82:83], v[6:7], v[76:77]
	v_pk_fma_f32 v[76:77], v[2:3], s[36:37], v[78:79]
	v_pk_mul_f32 v[130:131], v[54:55], s[18:19]
	v_mov_b32_e32 v87, v77
	v_pk_add_f32 v[86:87], v[82:83], v[86:87]
	v_pk_fma_f32 v[82:83], v[12:13], s[42:43], v[88:89]
	v_pk_fma_f32 v[132:133], v[2:3], s[40:41], v[130:131] neg_lo:[1,0,0] neg_hi:[1,0,0]
	v_mov_b32_e32 v91, v83
	v_pk_add_f32 v[86:87], v[86:87], v[90:91]
	v_pk_mul_f32 v[90:91], v[72:73], s[6:7]
	v_pk_fma_f32 v[134:135], v[2:3], s[40:41], v[130:131]
	v_pk_fma_f32 v[92:93], v[10:11], s[2:3], v[90:91] neg_lo:[1,0,0] neg_hi:[1,0,0]
	v_pk_fma_f32 v[94:95], v[10:11], s[2:3], v[90:91]
	v_mov_b32_e32 v133, v135
	v_mov_b32_e32 v93, v95
	v_pk_add_f32 v[86:87], v[86:87], v[92:93]
	v_pk_mul_f32 v[92:93], v[80:81], s[10:11]
	v_pk_mul_f32 v[54:55], v[54:55], s[6:7]
	v_pk_fma_f32 v[96:97], v[8:9], s[4:5], v[92:93] neg_lo:[1,0,0] neg_hi:[1,0,0]
	v_pk_fma_f32 v[98:99], v[8:9], s[4:5], v[92:93]
	v_pk_fma_f32 v[152:153], v[2:3], s[2:3], v[54:55] neg_lo:[1,0,0] neg_hi:[1,0,0]
	v_mov_b32_e32 v97, v99
	v_pk_add_f32 v[86:87], v[86:87], v[96:97]
	v_pk_mul_f32 v[96:97], v[84:85], s[12:13]
	v_pk_fma_f32 v[154:155], v[2:3], s[2:3], v[54:55]
	v_pk_fma_f32 v[100:101], v[14:15], s[34:35], v[96:97] neg_lo:[1,0,0] neg_hi:[1,0,0]
	v_pk_fma_f32 v[102:103], v[14:15], s[34:35], v[96:97]
	v_mov_b32_e32 v153, v155
	v_mov_b32_e32 v101, v103
	v_pk_add_f32 v[86:87], v[86:87], v[100:101]
	global_store_dwordx2 v[0:1], v[86:87], off offset:2184
	v_pk_mul_f32 v[86:87], v[46:47], s[8:9]
	v_pk_fma_f32 v[42:43], v[4:5], s[4:5], v[42:43] neg_lo:[0,0,1] neg_hi:[0,0,1]
	v_pk_fma_f32 v[100:101], v[4:5], s[30:31], v[86:87] neg_lo:[1,0,0] neg_hi:[1,0,0]
	v_pk_fma_f32 v[104:105], v[4:5], s[30:31], v[86:87]
	v_pk_fma_f32 v[40:41], v[2:3], s[30:31], v[40:41] neg_lo:[0,0,1] neg_hi:[0,0,1]
	v_mov_b32_e32 v101, v105
	v_pk_add_f32 v[100:101], v[6:7], v[100:101]
	v_mov_b32_e32 v49, v43
	v_pk_add_f32 v[100:101], v[100:101], v[108:109]
	v_pk_mul_f32 v[108:109], v[44:45], s[6:7]
	v_mov_b32_e32 v51, v41
	v_pk_fma_f32 v[112:113], v[12:13], s[2:3], v[108:109] neg_lo:[1,0,0] neg_hi:[1,0,0]
	v_pk_fma_f32 v[114:115], v[12:13], s[2:3], v[108:109]
	v_pk_add_f32 v[40:41], v[6:7], v[48:49]
	v_mov_b32_e32 v113, v115
	v_pk_add_f32 v[100:101], v[100:101], v[112:113]
	v_pk_mul_f32 v[112:113], v[72:73], s[16:17]
	s_mov_b32 s16, s25
	v_pk_fma_f32 v[116:117], v[10:11], s[28:29], v[112:113] neg_lo:[1,0,0] neg_hi:[1,0,0]
	v_pk_fma_f32 v[118:119], v[10:11], s[28:29], v[112:113]
	s_mov_b32 s17, s14
	v_mov_b32_e32 v117, v119
	v_pk_add_f32 v[100:101], v[100:101], v[116:117]
	v_pk_mul_f32 v[116:117], v[80:81], s[24:25]
	v_pk_fma_f32 v[42:43], v[12:13], s[36:37], v[56:57] neg_lo:[0,0,1] neg_hi:[0,0,1]
	v_pk_fma_f32 v[120:121], v[8:9], s[16:17], v[116:117] neg_lo:[1,0,0] neg_hi:[1,0,0]
	v_pk_fma_f32 v[122:123], v[8:9], s[16:17], v[116:117]
	v_pk_add_f32 v[40:41], v[40:41], v[50:51]
	v_mov_b32_e32 v121, v123
	v_pk_add_f32 v[100:101], v[100:101], v[120:121]
	v_pk_mul_f32 v[120:121], v[84:85], s[22:23]
	v_mov_b32_e32 v53, v43
	v_pk_fma_f32 v[124:125], v[14:15], s[20:21], v[120:121] neg_lo:[1,0,0] neg_hi:[1,0,0]
	v_pk_fma_f32 v[126:127], v[14:15], s[20:21], v[120:121]
	v_pk_fma_f32 v[42:43], v[10:11], s[38:39], v[60:61] neg_lo:[0,0,1] neg_hi:[0,0,1]
	v_mov_b32_e32 v125, v127
	v_pk_add_f32 v[100:101], v[100:101], v[124:125]
	global_store_dwordx2 v[0:1], v[100:101], off offset:2912
	v_pk_mul_f32 v[100:101], v[46:47], s[12:13]
	v_pk_mul_f32 v[46:47], v[46:47], s[14:15]
	v_pk_fma_f32 v[124:125], v[4:5], s[34:35], v[100:101] neg_lo:[1,0,0] neg_hi:[1,0,0]
	v_pk_fma_f32 v[128:129], v[4:5], s[34:35], v[100:101]
	v_pk_add_f32 v[40:41], v[40:41], v[52:53]
	v_mov_b32_e32 v125, v129
	v_pk_add_f32 v[124:125], v[6:7], v[124:125]
	v_mov_b32_e32 v59, v43
	v_pk_add_f32 v[124:125], v[124:125], v[132:133]
	v_pk_mul_f32 v[132:133], v[44:45], s[10:11]
	v_pk_mul_f32 v[44:45], v[44:45], s[12:13]
	v_pk_fma_f32 v[136:137], v[12:13], s[4:5], v[132:133] neg_lo:[1,0,0] neg_hi:[1,0,0]
	v_pk_fma_f32 v[138:139], v[12:13], s[4:5], v[132:133]
	v_pk_fma_f32 v[156:157], v[12:13], s[34:35], v[44:45]
	v_mov_b32_e32 v137, v139
	v_pk_add_f32 v[124:125], v[124:125], v[136:137]
	v_pk_mul_f32 v[136:137], v[72:73], s[24:25]
	v_pk_mul_f32 v[72:73], v[72:73], s[22:23]
	v_pk_fma_f32 v[140:141], v[10:11], s[16:17], v[136:137] neg_lo:[1,0,0] neg_hi:[1,0,0]
	v_pk_fma_f32 v[142:143], v[10:11], s[16:17], v[136:137]
	v_pk_fma_f32 v[158:159], v[10:11], s[20:21], v[72:73]
	;; [unrolled: 7-line block ×4, first 2 shown]
	v_mov_b32_e32 v149, v151
	v_pk_add_f32 v[124:125], v[124:125], v[148:149]
	global_store_dwordx2 v[0:1], v[124:125], off offset:3640
	v_pk_fma_f32 v[124:125], v[4:5], s[36:37], v[46:47] neg_lo:[1,0,0] neg_hi:[1,0,0]
	v_pk_fma_f32 v[148:149], v[4:5], s[36:37], v[46:47]
	v_pk_fma_f32 v[46:47], v[4:5], s[36:37], v[46:47] neg_lo:[0,0,1] neg_hi:[0,0,1]
	v_mov_b32_e32 v125, v149
	v_pk_add_f32 v[124:125], v[6:7], v[124:125]
	v_mov_b32_e32 v149, v47
	v_pk_add_f32 v[124:125], v[124:125], v[152:153]
	v_pk_fma_f32 v[152:153], v[12:13], s[34:35], v[44:45] neg_lo:[1,0,0] neg_hi:[1,0,0]
	v_pk_fma_f32 v[46:47], v[2:3], s[2:3], v[54:55] neg_lo:[0,0,1] neg_hi:[0,0,1]
	v_mov_b32_e32 v153, v157
	v_pk_add_f32 v[124:125], v[124:125], v[152:153]
	v_pk_fma_f32 v[152:153], v[10:11], s[20:21], v[72:73] neg_lo:[1,0,0] neg_hi:[1,0,0]
	v_mov_b32_e32 v155, v47
	v_mov_b32_e32 v153, v159
	v_pk_add_f32 v[46:47], v[6:7], v[148:149]
	v_pk_fma_f32 v[44:45], v[12:13], s[34:35], v[44:45] neg_lo:[0,0,1] neg_hi:[0,0,1]
	v_pk_add_f32 v[124:125], v[124:125], v[152:153]
	v_pk_fma_f32 v[152:153], v[8:9], s[30:31], v[80:81] neg_lo:[1,0,0] neg_hi:[1,0,0]
	v_pk_add_f32 v[46:47], v[46:47], v[154:155]
	v_mov_b32_e32 v157, v45
	v_mov_b32_e32 v153, v161
	v_pk_add_f32 v[44:45], v[46:47], v[156:157]
	v_pk_fma_f32 v[46:47], v[10:11], s[20:21], v[72:73] neg_lo:[0,0,1] neg_hi:[0,0,1]
	v_pk_add_f32 v[124:125], v[124:125], v[152:153]
	v_pk_fma_f32 v[152:153], v[14:15], s[40:41], v[84:85] neg_lo:[1,0,0] neg_hi:[1,0,0]
	v_mov_b32_e32 v159, v47
	v_pk_fma_f32 v[46:47], v[8:9], s[30:31], v[80:81] neg_lo:[0,0,1] neg_hi:[0,0,1]
	v_mov_b32_e32 v153, v163
	s_movk_i32 s6, 0x1000
	v_pk_add_f32 v[44:45], v[44:45], v[158:159]
	v_mov_b32_e32 v161, v47
	v_pk_fma_f32 v[46:47], v[14:15], s[40:41], v[84:85] neg_lo:[0,0,1] neg_hi:[0,0,1]
	v_pk_add_f32 v[124:125], v[124:125], v[152:153]
	v_add_co_u32_e32 v152, vcc, s6, v0
	v_pk_add_f32 v[44:45], v[44:45], v[160:161]
	v_mov_b32_e32 v163, v47
	v_addc_co_u32_e32 v153, vcc, 0, v1, vcc
	v_pk_add_f32 v[44:45], v[44:45], v[162:163]
	global_store_dwordx2 v[152:153], v[44:45], off offset:1000
	v_pk_fma_f32 v[44:45], v[4:5], s[34:35], v[100:101] neg_lo:[0,0,1] neg_hi:[0,0,1]
	v_pk_fma_f32 v[46:47], v[12:13], s[4:5], v[132:133] neg_lo:[0,0,1] neg_hi:[0,0,1]
	v_mov_b32_e32 v129, v45
	v_pk_fma_f32 v[44:45], v[2:3], s[40:41], v[130:131] neg_lo:[0,0,1] neg_hi:[0,0,1]
	v_mov_b32_e32 v139, v47
	v_mov_b32_e32 v135, v45
	v_pk_add_f32 v[44:45], v[6:7], v[128:129]
	v_pk_fma_f32 v[46:47], v[10:11], s[16:17], v[136:137] neg_lo:[0,0,1] neg_hi:[0,0,1]
	v_pk_add_f32 v[44:45], v[44:45], v[134:135]
	v_mov_b32_e32 v143, v47
	v_pk_add_f32 v[44:45], v[44:45], v[138:139]
	v_pk_fma_f32 v[46:47], v[8:9], s[2:3], v[140:141] neg_lo:[0,0,1] neg_hi:[0,0,1]
	v_pk_add_f32 v[44:45], v[44:45], v[142:143]
	v_mov_b32_e32 v147, v47
	v_pk_fma_f32 v[46:47], v[14:15], s[30:31], v[144:145] neg_lo:[0,0,1] neg_hi:[0,0,1]
	v_pk_add_f32 v[44:45], v[44:45], v[146:147]
	v_mov_b32_e32 v151, v47
	v_pk_add_f32 v[44:45], v[44:45], v[150:151]
	global_store_dwordx2 v[152:153], v[44:45], off offset:1728
	v_pk_fma_f32 v[44:45], v[4:5], s[30:31], v[86:87] neg_lo:[0,0,1] neg_hi:[0,0,1]
	v_pk_fma_f32 v[46:47], v[12:13], s[2:3], v[108:109] neg_lo:[0,0,1] neg_hi:[0,0,1]
	v_mov_b32_e32 v105, v45
	v_pk_fma_f32 v[44:45], v[2:3], s[38:39], v[106:107] neg_lo:[0,0,1] neg_hi:[0,0,1]
	v_mov_b32_e32 v115, v47
	v_mov_b32_e32 v111, v45
	v_pk_add_f32 v[44:45], v[6:7], v[104:105]
	v_pk_fma_f32 v[46:47], v[10:11], s[28:29], v[112:113] neg_lo:[0,0,1] neg_hi:[0,0,1]
	v_pk_add_f32 v[44:45], v[44:45], v[110:111]
	v_mov_b32_e32 v119, v47
	v_pk_add_f32 v[44:45], v[44:45], v[114:115]
	v_pk_fma_f32 v[46:47], v[8:9], s[16:17], v[116:117] neg_lo:[0,0,1] neg_hi:[0,0,1]
	v_pk_add_f32 v[44:45], v[44:45], v[118:119]
	v_mov_b32_e32 v123, v47
	v_pk_fma_f32 v[46:47], v[14:15], s[20:21], v[120:121] neg_lo:[0,0,1] neg_hi:[0,0,1]
	v_pk_add_f32 v[44:45], v[44:45], v[122:123]
	v_mov_b32_e32 v127, v47
	v_pk_add_f32 v[44:45], v[44:45], v[126:127]
	global_store_dwordx2 v[152:153], v[44:45], off offset:2456
	v_pk_fma_f32 v[44:45], v[4:5], s[28:29], v[74:75] neg_lo:[0,0,1] neg_hi:[0,0,1]
	v_pk_fma_f32 v[4:5], v[4:5], s[0:1], v[16:17] neg_lo:[0,0,1] neg_hi:[0,0,1]
	v_mov_b32_e32 v71, v45
	v_pk_fma_f32 v[44:45], v[2:3], s[36:37], v[78:79] neg_lo:[0,0,1] neg_hi:[0,0,1]
	v_mov_b32_e32 v19, v5
	v_pk_fma_f32 v[2:3], v[2:3], s[4:5], v[20:21] neg_lo:[0,0,1] neg_hi:[0,0,1]
	v_pk_add_f32 v[4:5], v[6:7], v[18:19]
	v_mov_b32_e32 v23, v3
	v_mov_b32_e32 v77, v45
	v_pk_add_f32 v[44:45], v[6:7], v[70:71]
	v_pk_fma_f32 v[46:47], v[12:13], s[42:43], v[88:89] neg_lo:[0,0,1] neg_hi:[0,0,1]
	v_pk_add_f32 v[2:3], v[4:5], v[22:23]
	v_pk_fma_f32 v[4:5], v[12:13], s[28:29], v[24:25] neg_lo:[0,0,1] neg_hi:[0,0,1]
	v_pk_add_f32 v[44:45], v[44:45], v[76:77]
	v_mov_b32_e32 v83, v47
	v_pk_fma_f32 v[46:47], v[10:11], s[2:3], v[90:91] neg_lo:[0,0,1] neg_hi:[0,0,1]
	v_mov_b32_e32 v27, v5
	v_pk_fma_f32 v[4:5], v[10:11], s[30:31], v[28:29] neg_lo:[0,0,1] neg_hi:[0,0,1]
	v_pk_add_f32 v[44:45], v[44:45], v[82:83]
	v_mov_b32_e32 v95, v47
	v_pk_fma_f32 v[46:47], v[8:9], s[4:5], v[92:93] neg_lo:[0,0,1] neg_hi:[0,0,1]
	v_pk_fma_f32 v[42:43], v[8:9], s[40:41], v[64:65] neg_lo:[0,0,1] neg_hi:[0,0,1]
	v_pk_add_f32 v[2:3], v[2:3], v[26:27]
	v_mov_b32_e32 v31, v5
	v_pk_fma_f32 v[4:5], v[8:9], s[34:35], v[32:33] neg_lo:[0,0,1] neg_hi:[0,0,1]
	v_pk_add_f32 v[44:45], v[44:45], v[94:95]
	v_mov_b32_e32 v99, v47
	;; [unrolled: 3-line block ×5, first 2 shown]
	v_pk_add_f32 v[40:41], v[40:41], v[62:63]
	v_mov_b32_e32 v67, v43
	v_pk_add_f32 v[2:3], v[2:3], v[34:35]
	v_mov_b32_e32 v39, v5
	v_add_co_u32_e32 v0, vcc, 0x2000, v0
	v_pk_add_f32 v[44:45], v[44:45], v[102:103]
	v_pk_add_f32 v[40:41], v[40:41], v[66:67]
	v_pk_add_f32 v[2:3], v[2:3], v[38:39]
	v_addc_co_u32_e32 v1, vcc, 0, v1, vcc
	global_store_dwordx2 v[152:153], v[124:125], off offset:272
	global_store_dwordx2 v[152:153], v[44:45], off offset:3184
	;; [unrolled: 1-line block ×4, first 2 shown]
.LBB0_19:
	s_endpgm
	.section	.rodata,"a",@progbits
	.p2align	6, 0x0
	.amdhsa_kernel fft_rtc_fwd_len1183_factors_7_13_13_wgs_182_tpt_91_halfLds_sp_ip_CI_unitstride_sbrr_dirReg
		.amdhsa_group_segment_fixed_size 0
		.amdhsa_private_segment_fixed_size 0
		.amdhsa_kernarg_size 88
		.amdhsa_user_sgpr_count 2
		.amdhsa_user_sgpr_dispatch_ptr 0
		.amdhsa_user_sgpr_queue_ptr 0
		.amdhsa_user_sgpr_kernarg_segment_ptr 1
		.amdhsa_user_sgpr_dispatch_id 0
		.amdhsa_user_sgpr_kernarg_preload_length 0
		.amdhsa_user_sgpr_kernarg_preload_offset 0
		.amdhsa_user_sgpr_private_segment_size 0
		.amdhsa_uses_dynamic_stack 0
		.amdhsa_enable_private_segment 0
		.amdhsa_system_sgpr_workgroup_id_x 1
		.amdhsa_system_sgpr_workgroup_id_y 0
		.amdhsa_system_sgpr_workgroup_id_z 0
		.amdhsa_system_sgpr_workgroup_info 0
		.amdhsa_system_vgpr_workitem_id 0
		.amdhsa_next_free_vgpr 164
		.amdhsa_next_free_sgpr 44
		.amdhsa_accum_offset 164
		.amdhsa_reserve_vcc 1
		.amdhsa_float_round_mode_32 0
		.amdhsa_float_round_mode_16_64 0
		.amdhsa_float_denorm_mode_32 3
		.amdhsa_float_denorm_mode_16_64 3
		.amdhsa_dx10_clamp 1
		.amdhsa_ieee_mode 1
		.amdhsa_fp16_overflow 0
		.amdhsa_tg_split 0
		.amdhsa_exception_fp_ieee_invalid_op 0
		.amdhsa_exception_fp_denorm_src 0
		.amdhsa_exception_fp_ieee_div_zero 0
		.amdhsa_exception_fp_ieee_overflow 0
		.amdhsa_exception_fp_ieee_underflow 0
		.amdhsa_exception_fp_ieee_inexact 0
		.amdhsa_exception_int_div_zero 0
	.end_amdhsa_kernel
	.text
.Lfunc_end0:
	.size	fft_rtc_fwd_len1183_factors_7_13_13_wgs_182_tpt_91_halfLds_sp_ip_CI_unitstride_sbrr_dirReg, .Lfunc_end0-fft_rtc_fwd_len1183_factors_7_13_13_wgs_182_tpt_91_halfLds_sp_ip_CI_unitstride_sbrr_dirReg
                                        ; -- End function
	.section	.AMDGPU.csdata,"",@progbits
; Kernel info:
; codeLenInByte = 9808
; NumSgprs: 50
; NumVgprs: 164
; NumAgprs: 0
; TotalNumVgprs: 164
; ScratchSize: 0
; MemoryBound: 0
; FloatMode: 240
; IeeeMode: 1
; LDSByteSize: 0 bytes/workgroup (compile time only)
; SGPRBlocks: 6
; VGPRBlocks: 20
; NumSGPRsForWavesPerEU: 50
; NumVGPRsForWavesPerEU: 164
; AccumOffset: 164
; Occupancy: 3
; WaveLimiterHint : 1
; COMPUTE_PGM_RSRC2:SCRATCH_EN: 0
; COMPUTE_PGM_RSRC2:USER_SGPR: 2
; COMPUTE_PGM_RSRC2:TRAP_HANDLER: 0
; COMPUTE_PGM_RSRC2:TGID_X_EN: 1
; COMPUTE_PGM_RSRC2:TGID_Y_EN: 0
; COMPUTE_PGM_RSRC2:TGID_Z_EN: 0
; COMPUTE_PGM_RSRC2:TIDIG_COMP_CNT: 0
; COMPUTE_PGM_RSRC3_GFX90A:ACCUM_OFFSET: 40
; COMPUTE_PGM_RSRC3_GFX90A:TG_SPLIT: 0
	.text
	.p2alignl 6, 3212836864
	.fill 256, 4, 3212836864
	.type	__hip_cuid_a4ee06d0e4f11166,@object ; @__hip_cuid_a4ee06d0e4f11166
	.section	.bss,"aw",@nobits
	.globl	__hip_cuid_a4ee06d0e4f11166
__hip_cuid_a4ee06d0e4f11166:
	.byte	0                               ; 0x0
	.size	__hip_cuid_a4ee06d0e4f11166, 1

	.ident	"AMD clang version 19.0.0git (https://github.com/RadeonOpenCompute/llvm-project roc-6.4.0 25133 c7fe45cf4b819c5991fe208aaa96edf142730f1d)"
	.section	".note.GNU-stack","",@progbits
	.addrsig
	.addrsig_sym __hip_cuid_a4ee06d0e4f11166
	.amdgpu_metadata
---
amdhsa.kernels:
  - .agpr_count:     0
    .args:
      - .actual_access:  read_only
        .address_space:  global
        .offset:         0
        .size:           8
        .value_kind:     global_buffer
      - .offset:         8
        .size:           8
        .value_kind:     by_value
      - .actual_access:  read_only
        .address_space:  global
        .offset:         16
        .size:           8
        .value_kind:     global_buffer
      - .actual_access:  read_only
        .address_space:  global
        .offset:         24
        .size:           8
        .value_kind:     global_buffer
      - .offset:         32
        .size:           8
        .value_kind:     by_value
      - .actual_access:  read_only
        .address_space:  global
        .offset:         40
        .size:           8
        .value_kind:     global_buffer
      - .actual_access:  read_only
        .address_space:  global
        .offset:         48
        .size:           8
        .value_kind:     global_buffer
      - .offset:         56
        .size:           4
        .value_kind:     by_value
      - .actual_access:  read_only
        .address_space:  global
        .offset:         64
        .size:           8
        .value_kind:     global_buffer
      - .actual_access:  read_only
        .address_space:  global
        .offset:         72
        .size:           8
        .value_kind:     global_buffer
      - .address_space:  global
        .offset:         80
        .size:           8
        .value_kind:     global_buffer
    .group_segment_fixed_size: 0
    .kernarg_segment_align: 8
    .kernarg_segment_size: 88
    .language:       OpenCL C
    .language_version:
      - 2
      - 0
    .max_flat_workgroup_size: 182
    .name:           fft_rtc_fwd_len1183_factors_7_13_13_wgs_182_tpt_91_halfLds_sp_ip_CI_unitstride_sbrr_dirReg
    .private_segment_fixed_size: 0
    .sgpr_count:     50
    .sgpr_spill_count: 0
    .symbol:         fft_rtc_fwd_len1183_factors_7_13_13_wgs_182_tpt_91_halfLds_sp_ip_CI_unitstride_sbrr_dirReg.kd
    .uniform_work_group_size: 1
    .uses_dynamic_stack: false
    .vgpr_count:     164
    .vgpr_spill_count: 0
    .wavefront_size: 64
amdhsa.target:   amdgcn-amd-amdhsa--gfx950
amdhsa.version:
  - 1
  - 2
...

	.end_amdgpu_metadata
